;; amdgpu-corpus repo=zjin-lcf/HeCBench kind=compiled arch=gfx1250 opt=O3
	.amdgcn_target "amdgcn-amd-amdhsa--gfx1250"
	.amdhsa_code_object_version 6
	.section	.text._Z15resize_bilinearIhLm8EEvPT_miiPKS0_iiffb,"axG",@progbits,_Z15resize_bilinearIhLm8EEvPT_miiPKS0_iiffb,comdat
	.protected	_Z15resize_bilinearIhLm8EEvPT_miiPKS0_iiffb ; -- Begin function _Z15resize_bilinearIhLm8EEvPT_miiPKS0_iiffb
	.globl	_Z15resize_bilinearIhLm8EEvPT_miiPKS0_iiffb
	.p2align	8
	.type	_Z15resize_bilinearIhLm8EEvPT_miiPKS0_iiffb,@function
_Z15resize_bilinearIhLm8EEvPT_miiPKS0_iiffb: ; @_Z15resize_bilinearIhLm8EEvPT_miiPKS0_iiffb
; %bb.0:
	s_load_b128 s[4:7], s[0:1], 0x8
	s_wait_kmcnt 0x0
	s_mul_i32 s2, s7, s6
	s_delay_alu instid0(SALU_CYCLE_1) | instskip(NEXT) | instid1(SALU_CYCLE_1)
	s_ashr_i32 s3, s2, 31
	s_or_b64 s[8:9], s[4:5], s[2:3]
	s_delay_alu instid0(SALU_CYCLE_1) | instskip(NEXT) | instid1(SALU_CYCLE_1)
	s_and_b64 s[8:9], s[8:9], 0xffffffff00000000
	s_cmp_lg_u64 s[8:9], 0
	s_cbranch_scc0 .LBB0_18
; %bb.1:
	s_cvt_f32_u32 s8, s2
	s_cvt_f32_u32 s9, s3
	s_sub_nc_u64 s[12:13], 0, s[2:3]
	s_delay_alu instid0(SALU_CYCLE_2) | instskip(NEXT) | instid1(SALU_CYCLE_3)
	s_fmamk_f32 s8, s9, 0x4f800000, s8
	v_s_rcp_f32 s8, s8
	s_delay_alu instid0(TRANS32_DEP_1) | instskip(NEXT) | instid1(SALU_CYCLE_3)
	s_mul_f32 s8, s8, 0x5f7ffffc
	s_mul_f32 s9, s8, 0x2f800000
	s_delay_alu instid0(SALU_CYCLE_3) | instskip(NEXT) | instid1(SALU_CYCLE_3)
	s_trunc_f32 s9, s9
	s_fmamk_f32 s8, s9, 0xcf800000, s8
	s_cvt_u32_f32 s11, s9
	s_mov_b32 s9, 0
	s_delay_alu instid0(SALU_CYCLE_1) | instskip(NEXT) | instid1(SALU_CYCLE_3)
	s_cvt_u32_f32 s10, s8
	s_mul_u64 s[14:15], s[12:13], s[10:11]
	s_delay_alu instid0(SALU_CYCLE_1)
	s_mul_hi_u32 s17, s10, s15
	s_mul_i32 s16, s10, s15
	s_mul_hi_u32 s8, s10, s14
	s_mul_i32 s19, s11, s14
	s_add_nc_u64 s[16:17], s[8:9], s[16:17]
	s_mul_hi_u32 s18, s11, s14
	s_mul_hi_u32 s20, s11, s15
	s_add_co_u32 s8, s16, s19
	s_add_co_ci_u32 s8, s17, s18
	s_mul_i32 s14, s11, s15
	s_add_co_ci_u32 s15, s20, 0
	s_delay_alu instid0(SALU_CYCLE_1) | instskip(NEXT) | instid1(SALU_CYCLE_1)
	s_add_nc_u64 s[14:15], s[8:9], s[14:15]
	s_add_co_u32 s10, s10, s14
	s_cselect_b32 s8, -1, 0
	s_delay_alu instid0(SALU_CYCLE_1) | instskip(SKIP_1) | instid1(SALU_CYCLE_1)
	s_cmp_lg_u32 s8, 0
	s_add_co_ci_u32 s11, s11, s15
	s_mul_u64 s[12:13], s[12:13], s[10:11]
	s_delay_alu instid0(SALU_CYCLE_1)
	s_mul_hi_u32 s15, s10, s13
	s_mul_i32 s14, s10, s13
	s_mul_hi_u32 s8, s10, s12
	s_mul_i32 s17, s11, s12
	s_add_nc_u64 s[14:15], s[8:9], s[14:15]
	s_mul_hi_u32 s16, s11, s12
	s_mul_hi_u32 s18, s11, s13
	s_add_co_u32 s8, s14, s17
	s_add_co_ci_u32 s8, s15, s16
	s_mul_i32 s12, s11, s13
	s_add_co_ci_u32 s13, s18, 0
	s_delay_alu instid0(SALU_CYCLE_1) | instskip(NEXT) | instid1(SALU_CYCLE_1)
	s_add_nc_u64 s[12:13], s[8:9], s[12:13]
	s_add_co_u32 s10, s10, s12
	s_cselect_b32 s12, -1, 0
	s_mul_hi_u32 s8, s4, s10
	s_cmp_lg_u32 s12, 0
	s_mul_hi_u32 s14, s5, s10
	s_add_co_ci_u32 s12, s11, s13
	s_mul_i32 s13, s5, s10
	s_mul_hi_u32 s11, s4, s12
	s_mul_i32 s10, s4, s12
	s_mul_hi_u32 s15, s5, s12
	s_add_nc_u64 s[10:11], s[8:9], s[10:11]
	s_mul_i32 s12, s5, s12
	s_add_co_u32 s8, s10, s13
	s_add_co_ci_u32 s8, s11, s14
	s_add_co_ci_u32 s13, s15, 0
	s_delay_alu instid0(SALU_CYCLE_1) | instskip(NEXT) | instid1(SALU_CYCLE_1)
	s_add_nc_u64 s[10:11], s[8:9], s[12:13]
	s_and_b64 s[12:13], s[10:11], 0xffffffff00000000
	s_delay_alu instid0(SALU_CYCLE_1) | instskip(NEXT) | instid1(SALU_CYCLE_1)
	s_or_b32 s12, s12, s10
	s_mul_u64 s[10:11], s[2:3], s[12:13]
	s_delay_alu instid0(SALU_CYCLE_1)
	s_sub_co_u32 s8, s4, s10
	s_cselect_b32 s10, -1, 0
	s_sub_co_i32 s14, s5, s11
	s_cmp_lg_u32 s10, 0
	s_sub_co_ci_u32 s14, s14, s3
	s_sub_co_u32 s15, s8, s2
	s_cselect_b32 s16, -1, 0
	s_delay_alu instid0(SALU_CYCLE_1) | instskip(SKIP_1) | instid1(SALU_CYCLE_1)
	s_cmp_lg_u32 s16, 0
	s_sub_co_ci_u32 s14, s14, 0
	s_cmp_ge_u32 s14, s3
	s_cselect_b32 s16, -1, 0
	s_cmp_ge_u32 s15, s2
	s_cselect_b32 s17, -1, 0
	s_cmp_eq_u32 s14, s3
	s_add_nc_u64 s[14:15], s[12:13], 1
	s_cselect_b32 s18, s17, s16
	s_add_nc_u64 s[16:17], s[12:13], 2
	s_cmp_lg_u32 s18, 0
	s_cselect_b32 s14, s16, s14
	s_cselect_b32 s15, s17, s15
	s_cmp_lg_u32 s10, 0
	s_sub_co_ci_u32 s5, s5, s11
	s_delay_alu instid0(SALU_CYCLE_1)
	s_cmp_ge_u32 s5, s3
	s_cselect_b32 s10, -1, 0
	s_cmp_ge_u32 s8, s2
	s_cselect_b32 s8, -1, 0
	s_cmp_eq_u32 s5, s3
	s_cselect_b32 s5, s8, s10
	s_delay_alu instid0(SALU_CYCLE_1)
	s_cmp_lg_u32 s5, 0
	s_cselect_b32 s11, s15, s13
	s_cselect_b32 s10, s14, s12
	s_cbranch_execnz .LBB0_3
.LBB0_2:
	v_cvt_f32_u32_e32 v1, s2
	s_sub_co_i32 s8, 0, s2
	s_mov_b32 s11, 0
	s_delay_alu instid0(VALU_DEP_1) | instskip(SKIP_1) | instid1(TRANS32_DEP_1)
	v_rcp_iflag_f32_e32 v1, v1
	v_nop
	v_mul_f32_e32 v1, 0x4f7ffffe, v1
	s_delay_alu instid0(VALU_DEP_1) | instskip(NEXT) | instid1(VALU_DEP_1)
	v_cvt_u32_f32_e32 v1, v1
	v_readfirstlane_b32 s5, v1
	s_mul_i32 s8, s8, s5
	s_delay_alu instid0(SALU_CYCLE_1) | instskip(NEXT) | instid1(SALU_CYCLE_1)
	s_mul_hi_u32 s8, s5, s8
	s_add_co_i32 s5, s5, s8
	s_delay_alu instid0(SALU_CYCLE_1) | instskip(NEXT) | instid1(SALU_CYCLE_1)
	s_mul_hi_u32 s5, s4, s5
	s_mul_i32 s8, s5, s2
	s_delay_alu instid0(SALU_CYCLE_1)
	s_sub_co_i32 s4, s4, s8
	s_add_co_i32 s8, s5, 1
	s_sub_co_i32 s9, s4, s2
	s_cmp_ge_u32 s4, s2
	s_cselect_b32 s5, s8, s5
	s_cselect_b32 s4, s9, s4
	s_add_co_i32 s8, s5, 1
	s_cmp_ge_u32 s4, s2
	s_cselect_b32 s10, s8, s5
.LBB0_3:
	s_load_b32 s8, s[0:1], 0x44
	s_bfe_u32 s9, ttmp6, 0x4000c
	s_lshr_b64 s[4:5], s[10:11], 3
	s_add_co_i32 s9, s9, 1
	s_and_b32 s10, ttmp6, 15
	s_mul_i32 s9, ttmp9, s9
	s_getreg_b32 s11, hwreg(HW_REG_IB_STS2, 6, 4)
	s_add_co_i32 s10, s10, s9
	s_mul_u64 s[4:5], s[4:5], s[2:3]
	s_mov_b32 s13, 0
	s_wait_kmcnt 0x0
	s_and_b32 s12, s8, 0xffff
	s_cmp_eq_u32 s11, 0
	s_cselect_b32 s8, ttmp9, s10
	v_nop
	v_mad_u32 v0, s8, s12, v0
	s_mov_b32 s8, exec_lo
	s_delay_alu instid0(VALU_DEP_1) | instskip(NEXT) | instid1(VALU_DEP_1)
	v_ashrrev_i32_e32 v1, 31, v0
	v_cmpx_gt_u64_e64 s[4:5], v[0:1]
	s_cbranch_execz .LBB0_17
; %bb.4:
	s_clause 0x1
	s_load_b32 s16, s[0:1], 0x30
	s_load_b128 s[8:11], s[0:1], 0x20
	s_add_nc_u64 s[14:15], s[0:1], 56
	v_mov_b32_e32 v3, 0
	s_load_b32 s26, s[14:15], 0x0
	s_wait_kmcnt 0x0
	s_bitcmp1_b32 s16, 0
	s_clause 0x1
	s_load_b64 s[14:15], s[0:1], 0x18
	s_load_b64 s[16:17], s[0:1], 0x0
	s_cselect_b32 s21, -1, 0
	s_abs_i32 s24, s2
	s_abs_i32 s25, s7
	s_cvt_f32_u32 s18, s24
	s_cvt_f32_u32 s19, s25
	s_mul_i32 s26, s26, s12
	s_sub_co_i32 s22, 0, s24
	v_rcp_iflag_f32_e32 v1, s18
	v_rcp_iflag_f32_e32 v2, s19
	s_mul_i32 s18, s9, s8
	s_add_co_i32 s20, s9, -1
	s_wait_xcnt 0x0
	s_mov_b32 s1, s13
	s_add_co_i32 s8, s8, -1
	s_ashr_i32 s27, s2, 31
	v_readfirstlane_b32 s0, v1
	v_readfirstlane_b32 s12, v2
	s_ashr_i32 s28, s7, 31
	s_ashr_i32 s19, s18, 31
	s_xor_b32 s29, s21, -1
	s_mul_f32 s0, s0, 0x4f7ffffe
	s_mul_f32 s12, s12, 0x4f7ffffe
	s_ashr_i32 s21, s20, 31
	s_delay_alu instid0(SALU_CYCLE_1) | instskip(NEXT) | instid1(SALU_CYCLE_1)
	s_cvt_u32_f32 s0, s0
	s_cvt_u32_f32 s23, s12
	s_sub_co_i32 s12, 0, s25
	s_delay_alu instid0(SALU_CYCLE_1) | instskip(NEXT) | instid1(SALU_CYCLE_1)
	s_mul_i32 s22, s22, s0
	s_mul_i32 s12, s12, s23
	s_mul_hi_u32 s22, s0, s22
	s_mul_hi_u32 s30, s23, s12
	s_add_co_i32 s12, s0, s22
	s_add_co_i32 s0, s23, s30
	s_mov_b32 s30, s13
	s_branch .LBB0_6
.LBB0_5:                                ;   in Loop: Header=BB0_6 Depth=1
	s_or_b32 exec_lo, exec_lo, s31
	v_add_nc_u32_e32 v0, s26, v0
	s_delay_alu instid0(VALU_DEP_1) | instskip(NEXT) | instid1(VALU_DEP_1)
	v_ashrrev_i32_e32 v1, 31, v0
	v_cmp_le_u64_e32 vcc_lo, s[4:5], v[0:1]
	s_or_b32 s30, vcc_lo, s30
	s_delay_alu instid0(SALU_CYCLE_1)
	s_and_not1_b32 exec_lo, exec_lo, s30
	s_cbranch_execz .LBB0_17
.LBB0_6:                                ; =>This Loop Header: Depth=1
                                        ;     Child Loop BB0_16 Depth 2
	v_sub_nc_u32_e32 v1, 0, v0
	s_mov_b32 s22, -1
	s_delay_alu instid0(VALU_DEP_1) | instskip(NEXT) | instid1(VALU_DEP_1)
	v_max_i32_e32 v2, v0, v1
	v_mul_u64_e32 v[4:5], s[0:1], v[2:3]
	s_delay_alu instid0(VALU_DEP_1) | instskip(NEXT) | instid1(VALU_DEP_1)
	v_mul_lo_u32 v1, v5, s25
	v_sub_nc_u32_e32 v1, v2, v1
	s_delay_alu instid0(VALU_DEP_1) | instskip(SKIP_1) | instid1(VALU_DEP_2)
	v_subrev_nc_u32_e32 v4, s25, v1
	v_cmp_le_u32_e32 vcc_lo, s25, v1
	v_cndmask_b32_e32 v4, v1, v4, vcc_lo
	v_ashrrev_i32_e32 v1, 31, v0
	s_delay_alu instid0(VALU_DEP_2) | instskip(SKIP_1) | instid1(VALU_DEP_2)
	v_subrev_nc_u32_e32 v5, s25, v4
	v_cmp_le_u32_e32 vcc_lo, s25, v4
	v_cndmask_b32_e32 v4, v4, v5, vcc_lo
	s_and_b32 vcc_lo, exec_lo, s29
	s_delay_alu instid0(VALU_DEP_1) | instskip(NEXT) | instid1(VALU_DEP_1)
	v_xor_b32_e32 v5, v4, v1
	v_sub_nc_u32_e32 v4, v5, v1
	s_delay_alu instid0(VALU_DEP_1)
	v_cvt_f32_i32_e32 v6, v4
                                        ; implicit-def: $vgpr4
	s_cbranch_vccz .LBB0_8
; %bb.7:                                ;   in Loop: Header=BB0_6 Depth=1
	s_delay_alu instid0(VALU_DEP_1)
	v_mul_f32_e32 v4, s11, v6
	s_mov_b32 s22, 0
.LBB0_8:                                ;   in Loop: Header=BB0_6 Depth=1
	s_delay_alu instid0(SALU_CYCLE_1)
	s_and_not1_b32 vcc_lo, exec_lo, s22
	s_cbranch_vccnz .LBB0_10
; %bb.9:                                ;   in Loop: Header=BB0_6 Depth=1
	s_delay_alu instid0(VALU_DEP_1) | instskip(NEXT) | instid1(VALU_DEP_1)
	v_add_f32_e32 v4, 0.5, v6
	v_fma_f32 v4, s11, v4, -0.5
	s_delay_alu instid0(VALU_DEP_1)
	v_max_num_f32_e32 v4, 0, v4
.LBB0_10:                               ;   in Loop: Header=BB0_6 Depth=1
	v_mul_u64_e32 v[6:7], s[12:13], v[2:3]
	s_mov_b32 s22, -1
	s_delay_alu instid0(VALU_DEP_1) | instskip(NEXT) | instid1(VALU_DEP_1)
	v_mul_lo_u32 v6, v7, s24
	v_dual_sub_nc_u32 v2, v2, v6 :: v_dual_add_nc_u32 v6, 1, v7
	s_delay_alu instid0(VALU_DEP_1) | instskip(SKIP_1) | instid1(VALU_DEP_2)
	v_subrev_nc_u32_e32 v8, s24, v2
	v_cmp_le_u32_e32 vcc_lo, s24, v2
	v_dual_cndmask_b32 v6, v7, v6, vcc_lo :: v_dual_cndmask_b32 v2, v2, v8, vcc_lo
	s_delay_alu instid0(VALU_DEP_1) | instskip(NEXT) | instid1(VALU_DEP_2)
	v_dual_add_nc_u32 v7, 1, v6 :: v_dual_bitop2_b32 v8, s27, v1 bitop3:0x14
	v_cmp_le_u32_e32 vcc_lo, s24, v2
	s_delay_alu instid0(VALU_DEP_2) | instskip(NEXT) | instid1(VALU_DEP_1)
	v_cndmask_b32_e32 v2, v6, v7, vcc_lo
	v_xor_b32_e32 v2, v2, v8
	s_delay_alu instid0(VALU_DEP_1) | instskip(NEXT) | instid1(VALU_DEP_1)
	v_sub_nc_u32_e32 v9, v2, v8
	v_mul_lo_u32 v2, v9, s2
	s_delay_alu instid0(VALU_DEP_1) | instskip(NEXT) | instid1(VALU_DEP_1)
	v_sub_nc_u32_e32 v8, v0, v2
	v_sub_nc_u32_e32 v2, 0, v8
	s_delay_alu instid0(VALU_DEP_1) | instskip(NEXT) | instid1(VALU_DEP_1)
	v_max_i32_e32 v2, v8, v2
	v_mul_u64_e32 v[6:7], s[0:1], v[2:3]
	s_delay_alu instid0(VALU_DEP_1) | instskip(NEXT) | instid1(VALU_DEP_1)
	v_mul_lo_u32 v6, v7, s25
	v_dual_sub_nc_u32 v2, v2, v6 :: v_dual_add_nc_u32 v6, 1, v7
	s_delay_alu instid0(VALU_DEP_1) | instskip(NEXT) | instid1(VALU_DEP_2)
	v_cmp_le_u32_e32 vcc_lo, s25, v2
	v_dual_cndmask_b32 v7, v7, v6 :: v_dual_ashrrev_i32 v6, 31, v8
	s_delay_alu instid0(VALU_DEP_1) | instskip(SKIP_1) | instid1(VALU_DEP_1)
	v_dual_add_nc_u32 v8, 1, v7 :: v_dual_bitop2_b32 v6, s28, v6 bitop3:0x14
	v_subrev_nc_u32_e32 v10, s25, v2
	v_cndmask_b32_e32 v2, v2, v10, vcc_lo
	s_delay_alu instid0(VALU_DEP_1) | instskip(NEXT) | instid1(VALU_DEP_4)
	v_cmp_le_u32_e32 vcc_lo, s25, v2
	v_cndmask_b32_e32 v2, v7, v8, vcc_lo
	s_and_b32 vcc_lo, exec_lo, s29
                                        ; implicit-def: $vgpr7
	s_delay_alu instid0(VALU_DEP_1) | instskip(NEXT) | instid1(VALU_DEP_1)
	v_xor_b32_e32 v8, v2, v6
	v_sub_nc_u32_e32 v2, v8, v6
	s_delay_alu instid0(VALU_DEP_1)
	v_cvt_f32_i32_e32 v2, v2
	s_cbranch_vccz .LBB0_12
; %bb.11:                               ;   in Loop: Header=BB0_6 Depth=1
	s_delay_alu instid0(VALU_DEP_1)
	v_mul_f32_e32 v7, s10, v2
	s_mov_b32 s22, 0
.LBB0_12:                               ;   in Loop: Header=BB0_6 Depth=1
	s_delay_alu instid0(SALU_CYCLE_1)
	s_and_not1_b32 vcc_lo, exec_lo, s22
	s_cbranch_vccnz .LBB0_14
; %bb.13:                               ;   in Loop: Header=BB0_6 Depth=1
	s_delay_alu instid0(VALU_DEP_1) | instskip(NEXT) | instid1(VALU_DEP_1)
	v_add_f32_e32 v2, 0.5, v2
	v_fma_f32 v2, s10, v2, -0.5
	s_delay_alu instid0(VALU_DEP_1)
	v_max_num_f32_e32 v7, 0, v2
.LBB0_14:                               ;   in Loop: Header=BB0_6 Depth=1
	v_lshlrev_b32_e32 v2, 3, v9
	s_mov_b32 s31, exec_lo
	s_delay_alu instid0(VALU_DEP_1)
	v_cmpx_ne_u32_e32 0x7ffffff8, v2
	s_cbranch_execz .LBB0_5
; %bb.15:                               ;   in Loop: Header=BB0_6 Depth=1
	v_mad_u32 v8, s6, v2, v8
	v_cvt_i32_f32_e32 v10, v4
	v_mul_lo_u32 v9, v2, s18
	v_cvt_i32_f32_e32 v11, v7
	s_mov_b32 s33, 0
	s_wait_kmcnt 0x0
	s_mov_b64 s[22:23], s[14:15]
	v_add_nc_u32_e32 v12, 1, v10
	v_cvt_f32_i32_e32 v15, v10
	v_add_min_i32_e64 v14, v11, 1, s8
	v_dual_sub_nc_u32 v6, v8, v6 :: v_dual_min_i32 v8, s8, v11
	s_delay_alu instid0(VALU_DEP_4) | instskip(NEXT) | instid1(VALU_DEP_3)
	v_ashrrev_i32_e32 v13, 31, v12
	v_mad_u32 v16, v14, s9, v9
	v_add_nc_u32_e32 v14, 8, v2
	s_delay_alu instid0(VALU_DEP_4) | instskip(SKIP_4) | instid1(VALU_DEP_4)
	v_mad_u32 v5, s7, v6, v5
	v_mad_u32 v8, v8, s9, v9
	v_min_i64 v[12:13], s[20:21], v[12:13]
	v_cvt_f32_i32_e32 v6, v11
	v_dual_ashrrev_i32 v11, 31, v10 :: v_dual_ashrrev_i32 v17, 31, v16
	v_dual_sub_nc_u32 v18, v5, v1 :: v_dual_ashrrev_i32 v9, 31, v8
	s_delay_alu instid0(VALU_DEP_3) | instskip(NEXT) | instid1(VALU_DEP_3)
	v_dual_sub_f32 v15, v4, v15 :: v_dual_sub_f32 v1, v7, v6
	v_add_nc_u64_e32 v[6:7], v[10:11], v[16:17]
	s_delay_alu instid0(VALU_DEP_3) | instskip(NEXT) | instid1(VALU_DEP_4)
	v_ashrrev_i32_e32 v19, 31, v18
	v_add_nc_u64_e32 v[4:5], v[10:11], v[8:9]
	s_delay_alu instid0(VALU_DEP_4)
	v_cvt_i32_f32_e32 v15, v15
	v_cvt_i32_f32_e32 v1, v1
	v_add_nc_u64_e32 v[8:9], v[12:13], v[8:9]
	v_add_nc_u64_e32 v[10:11], v[12:13], v[16:17]
	v_add_nc_u64_e32 v[12:13], s[16:17], v[18:19]
.LBB0_16:                               ;   Parent Loop BB0_6 Depth=1
                                        ; =>  This Inner Loop Header: Depth=2
	s_delay_alu instid0(VALU_DEP_3)
	v_add_nc_u64_e32 v[16:17], s[22:23], v[8:9]
	v_add_nc_u64_e32 v[18:19], s[22:23], v[6:7]
	;; [unrolled: 1-line block ×3, first 2 shown]
	v_add_nc_u32_e32 v2, 1, v2
	s_clause 0x2
	global_load_u8 v22, v[16:17], off
	global_load_u8 v23, v[18:19], off
	;; [unrolled: 1-line block ×3, first 2 shown]
	s_wait_xcnt 0x2
	v_add_nc_u64_e32 v[16:17], s[22:23], v[10:11]
	v_cmp_ge_i32_e32 vcc_lo, v2, v14
	s_add_nc_u64 s[22:23], s[22:23], s[18:19]
	s_or_b32 s33, vcc_lo, s33
	global_load_u8 v16, v[16:17], off
	s_wait_loadcnt 0x2
	s_wait_xcnt 0x0
	v_add_nc_u16 v17, v22, v23
	s_wait_loadcnt 0x1
	v_sub_nc_u16 v18, v23, v24
	v_sub_nc_u16 v19, v22, v24
	s_delay_alu instid0(VALU_DEP_3) | instskip(SKIP_1) | instid1(VALU_DEP_1)
	v_sub_nc_u16 v17, v24, v17
	s_wait_loadcnt 0x0
	v_add_nc_u16 v16, v17, v16
	s_delay_alu instid0(VALU_DEP_3) | instskip(NEXT) | instid1(VALU_DEP_2)
	v_mad_u16 v17, v19, v15, v24
	v_mad_u16 v16, v16, v15, v18
	s_delay_alu instid0(VALU_DEP_1)
	v_mad_u16 v16, v16, v1, v17
	global_store_b8 v[12:13], v16, off
	s_wait_xcnt 0x0
	v_add_nc_u64_e32 v[12:13], s[2:3], v[12:13]
	s_and_not1_b32 exec_lo, exec_lo, s33
	s_cbranch_execnz .LBB0_16
	s_branch .LBB0_5
.LBB0_17:
	s_endpgm
.LBB0_18:
                                        ; implicit-def: $sgpr10_sgpr11
	s_branch .LBB0_2
	.section	.rodata,"a",@progbits
	.p2align	6, 0x0
	.amdhsa_kernel _Z15resize_bilinearIhLm8EEvPT_miiPKS0_iiffb
		.amdhsa_group_segment_fixed_size 0
		.amdhsa_private_segment_fixed_size 0
		.amdhsa_kernarg_size 312
		.amdhsa_user_sgpr_count 2
		.amdhsa_user_sgpr_dispatch_ptr 0
		.amdhsa_user_sgpr_queue_ptr 0
		.amdhsa_user_sgpr_kernarg_segment_ptr 1
		.amdhsa_user_sgpr_dispatch_id 0
		.amdhsa_user_sgpr_kernarg_preload_length 0
		.amdhsa_user_sgpr_kernarg_preload_offset 0
		.amdhsa_user_sgpr_private_segment_size 0
		.amdhsa_wavefront_size32 1
		.amdhsa_uses_dynamic_stack 0
		.amdhsa_enable_private_segment 0
		.amdhsa_system_sgpr_workgroup_id_x 1
		.amdhsa_system_sgpr_workgroup_id_y 0
		.amdhsa_system_sgpr_workgroup_id_z 0
		.amdhsa_system_sgpr_workgroup_info 0
		.amdhsa_system_vgpr_workitem_id 0
		.amdhsa_next_free_vgpr 25
		.amdhsa_next_free_sgpr 34
		.amdhsa_named_barrier_count 0
		.amdhsa_reserve_vcc 1
		.amdhsa_float_round_mode_32 0
		.amdhsa_float_round_mode_16_64 0
		.amdhsa_float_denorm_mode_32 3
		.amdhsa_float_denorm_mode_16_64 3
		.amdhsa_fp16_overflow 0
		.amdhsa_memory_ordered 1
		.amdhsa_forward_progress 1
		.amdhsa_inst_pref_size 15
		.amdhsa_round_robin_scheduling 0
		.amdhsa_exception_fp_ieee_invalid_op 0
		.amdhsa_exception_fp_denorm_src 0
		.amdhsa_exception_fp_ieee_div_zero 0
		.amdhsa_exception_fp_ieee_overflow 0
		.amdhsa_exception_fp_ieee_underflow 0
		.amdhsa_exception_fp_ieee_inexact 0
		.amdhsa_exception_int_div_zero 0
	.end_amdhsa_kernel
	.section	.text._Z15resize_bilinearIhLm8EEvPT_miiPKS0_iiffb,"axG",@progbits,_Z15resize_bilinearIhLm8EEvPT_miiPKS0_iiffb,comdat
.Lfunc_end0:
	.size	_Z15resize_bilinearIhLm8EEvPT_miiPKS0_iiffb, .Lfunc_end0-_Z15resize_bilinearIhLm8EEvPT_miiPKS0_iiffb
                                        ; -- End function
	.set _Z15resize_bilinearIhLm8EEvPT_miiPKS0_iiffb.num_vgpr, 25
	.set _Z15resize_bilinearIhLm8EEvPT_miiPKS0_iiffb.num_agpr, 0
	.set _Z15resize_bilinearIhLm8EEvPT_miiPKS0_iiffb.numbered_sgpr, 34
	.set _Z15resize_bilinearIhLm8EEvPT_miiPKS0_iiffb.num_named_barrier, 0
	.set _Z15resize_bilinearIhLm8EEvPT_miiPKS0_iiffb.private_seg_size, 0
	.set _Z15resize_bilinearIhLm8EEvPT_miiPKS0_iiffb.uses_vcc, 1
	.set _Z15resize_bilinearIhLm8EEvPT_miiPKS0_iiffb.uses_flat_scratch, 0
	.set _Z15resize_bilinearIhLm8EEvPT_miiPKS0_iiffb.has_dyn_sized_stack, 0
	.set _Z15resize_bilinearIhLm8EEvPT_miiPKS0_iiffb.has_recursion, 0
	.set _Z15resize_bilinearIhLm8EEvPT_miiPKS0_iiffb.has_indirect_call, 0
	.section	.AMDGPU.csdata,"",@progbits
; Kernel info:
; codeLenInByte = 1852
; TotalNumSgprs: 36
; NumVgprs: 25
; ScratchSize: 0
; MemoryBound: 0
; FloatMode: 240
; IeeeMode: 1
; LDSByteSize: 0 bytes/workgroup (compile time only)
; SGPRBlocks: 0
; VGPRBlocks: 1
; NumSGPRsForWavesPerEU: 36
; NumVGPRsForWavesPerEU: 25
; NamedBarCnt: 0
; Occupancy: 16
; WaveLimiterHint : 0
; COMPUTE_PGM_RSRC2:SCRATCH_EN: 0
; COMPUTE_PGM_RSRC2:USER_SGPR: 2
; COMPUTE_PGM_RSRC2:TRAP_HANDLER: 0
; COMPUTE_PGM_RSRC2:TGID_X_EN: 1
; COMPUTE_PGM_RSRC2:TGID_Y_EN: 0
; COMPUTE_PGM_RSRC2:TGID_Z_EN: 0
; COMPUTE_PGM_RSRC2:TIDIG_COMP_CNT: 0
	.section	.text._Z6resizeIhLm8EEvPT_miiPKS0_iiffbb,"axG",@progbits,_Z6resizeIhLm8EEvPT_miiPKS0_iiffbb,comdat
	.protected	_Z6resizeIhLm8EEvPT_miiPKS0_iiffbb ; -- Begin function _Z6resizeIhLm8EEvPT_miiPKS0_iiffbb
	.globl	_Z6resizeIhLm8EEvPT_miiPKS0_iiffbb
	.p2align	8
	.type	_Z6resizeIhLm8EEvPT_miiPKS0_iiffbb,@function
_Z6resizeIhLm8EEvPT_miiPKS0_iiffbb:     ; @_Z6resizeIhLm8EEvPT_miiPKS0_iiffbb
; %bb.0:
	s_load_b128 s[4:7], s[0:1], 0x8
	s_wait_kmcnt 0x0
	s_mul_i32 s12, s7, s6
	s_delay_alu instid0(SALU_CYCLE_1) | instskip(NEXT) | instid1(SALU_CYCLE_1)
	s_ashr_i32 s13, s12, 31
	s_or_b64 s[2:3], s[4:5], s[12:13]
	s_delay_alu instid0(SALU_CYCLE_1) | instskip(NEXT) | instid1(SALU_CYCLE_1)
	s_and_b64 s[2:3], s[2:3], 0xffffffff00000000
	s_cmp_lg_u64 s[2:3], 0
	s_cbranch_scc0 .LBB1_15
; %bb.1:
	s_cvt_f32_u32 s2, s12
	s_cvt_f32_u32 s3, s13
	s_sub_nc_u64 s[10:11], 0, s[12:13]
	s_delay_alu instid0(SALU_CYCLE_2) | instskip(NEXT) | instid1(SALU_CYCLE_3)
	s_fmamk_f32 s2, s3, 0x4f800000, s2
	v_s_rcp_f32 s2, s2
	s_delay_alu instid0(TRANS32_DEP_1) | instskip(NEXT) | instid1(SALU_CYCLE_3)
	s_mul_f32 s2, s2, 0x5f7ffffc
	s_mul_f32 s3, s2, 0x2f800000
	s_delay_alu instid0(SALU_CYCLE_3) | instskip(NEXT) | instid1(SALU_CYCLE_3)
	s_trunc_f32 s3, s3
	s_fmamk_f32 s2, s3, 0xcf800000, s2
	s_cvt_u32_f32 s9, s3
	s_mov_b32 s3, 0
	s_delay_alu instid0(SALU_CYCLE_1) | instskip(NEXT) | instid1(SALU_CYCLE_3)
	s_cvt_u32_f32 s8, s2
	s_mul_u64 s[14:15], s[10:11], s[8:9]
	s_delay_alu instid0(SALU_CYCLE_1)
	s_mul_hi_u32 s17, s8, s15
	s_mul_i32 s16, s8, s15
	s_mul_hi_u32 s2, s8, s14
	s_mul_i32 s18, s9, s14
	s_add_nc_u64 s[16:17], s[2:3], s[16:17]
	s_mul_hi_u32 s6, s9, s14
	s_mul_hi_u32 s19, s9, s15
	s_add_co_u32 s2, s16, s18
	s_add_co_ci_u32 s2, s17, s6
	s_mul_i32 s14, s9, s15
	s_add_co_ci_u32 s15, s19, 0
	s_delay_alu instid0(SALU_CYCLE_1) | instskip(NEXT) | instid1(SALU_CYCLE_1)
	s_add_nc_u64 s[14:15], s[2:3], s[14:15]
	s_add_co_u32 s8, s8, s14
	s_cselect_b32 s2, -1, 0
	s_delay_alu instid0(SALU_CYCLE_1) | instskip(SKIP_1) | instid1(SALU_CYCLE_1)
	s_cmp_lg_u32 s2, 0
	s_add_co_ci_u32 s9, s9, s15
	s_mul_u64 s[10:11], s[10:11], s[8:9]
	s_delay_alu instid0(SALU_CYCLE_1)
	s_mul_hi_u32 s15, s8, s11
	s_mul_i32 s14, s8, s11
	s_mul_hi_u32 s2, s8, s10
	s_mul_i32 s16, s9, s10
	s_add_nc_u64 s[14:15], s[2:3], s[14:15]
	s_mul_hi_u32 s6, s9, s10
	s_mul_hi_u32 s17, s9, s11
	s_add_co_u32 s2, s14, s16
	s_add_co_ci_u32 s2, s15, s6
	s_mul_i32 s10, s9, s11
	s_add_co_ci_u32 s11, s17, 0
	s_delay_alu instid0(SALU_CYCLE_1) | instskip(NEXT) | instid1(SALU_CYCLE_1)
	s_add_nc_u64 s[10:11], s[2:3], s[10:11]
	s_add_co_u32 s6, s8, s10
	s_cselect_b32 s8, -1, 0
	s_mul_hi_u32 s2, s4, s6
	s_cmp_lg_u32 s8, 0
	s_mul_hi_u32 s14, s5, s6
	s_add_co_ci_u32 s10, s9, s11
	s_mul_i32 s6, s5, s6
	s_mul_hi_u32 s9, s4, s10
	s_mul_i32 s8, s4, s10
	s_mul_hi_u32 s11, s5, s10
	s_add_nc_u64 s[8:9], s[2:3], s[8:9]
	s_mul_i32 s10, s5, s10
	s_add_co_u32 s2, s8, s6
	s_add_co_ci_u32 s2, s9, s14
	s_add_co_ci_u32 s11, s11, 0
	s_delay_alu instid0(SALU_CYCLE_1) | instskip(NEXT) | instid1(SALU_CYCLE_1)
	s_add_nc_u64 s[8:9], s[2:3], s[10:11]
	s_and_b64 s[10:11], s[8:9], 0xffffffff00000000
	s_delay_alu instid0(SALU_CYCLE_1) | instskip(NEXT) | instid1(SALU_CYCLE_1)
	s_or_b32 s10, s10, s8
	s_mul_u64 s[8:9], s[12:13], s[10:11]
	s_delay_alu instid0(SALU_CYCLE_1)
	s_sub_co_u32 s2, s4, s8
	s_cselect_b32 s6, -1, 0
	s_sub_co_i32 s8, s5, s9
	s_cmp_lg_u32 s6, 0
	s_sub_co_ci_u32 s8, s8, s13
	s_sub_co_u32 s14, s2, s12
	s_cselect_b32 s15, -1, 0
	s_delay_alu instid0(SALU_CYCLE_1) | instskip(SKIP_1) | instid1(SALU_CYCLE_1)
	s_cmp_lg_u32 s15, 0
	s_sub_co_ci_u32 s8, s8, 0
	s_cmp_ge_u32 s8, s13
	s_cselect_b32 s16, -1, 0
	s_cmp_ge_u32 s14, s12
	s_add_nc_u64 s[14:15], s[10:11], 1
	s_cselect_b32 s17, -1, 0
	s_cmp_eq_u32 s8, s13
	s_cselect_b32 s8, s17, s16
	s_add_nc_u64 s[16:17], s[10:11], 2
	s_cmp_lg_u32 s8, 0
	s_cselect_b32 s8, s16, s14
	s_cselect_b32 s14, s17, s15
	s_cmp_lg_u32 s6, 0
	s_sub_co_ci_u32 s5, s5, s9
	s_delay_alu instid0(SALU_CYCLE_1)
	s_cmp_ge_u32 s5, s13
	s_cselect_b32 s6, -1, 0
	s_cmp_ge_u32 s2, s12
	s_cselect_b32 s2, -1, 0
	s_cmp_eq_u32 s5, s13
	s_cselect_b32 s2, s2, s6
	s_delay_alu instid0(SALU_CYCLE_1)
	s_cmp_lg_u32 s2, 0
	s_cselect_b32 s9, s14, s11
	s_cselect_b32 s8, s8, s10
	s_cbranch_execnz .LBB1_3
.LBB1_2:
	v_cvt_f32_u32_e32 v1, s12
	s_sub_co_i32 s3, 0, s12
	s_mov_b32 s9, 0
	s_delay_alu instid0(VALU_DEP_1) | instskip(SKIP_1) | instid1(TRANS32_DEP_1)
	v_rcp_iflag_f32_e32 v1, v1
	v_nop
	v_mul_f32_e32 v1, 0x4f7ffffe, v1
	s_delay_alu instid0(VALU_DEP_1) | instskip(NEXT) | instid1(VALU_DEP_1)
	v_cvt_u32_f32_e32 v1, v1
	v_readfirstlane_b32 s2, v1
	s_mul_i32 s3, s3, s2
	s_delay_alu instid0(SALU_CYCLE_1) | instskip(NEXT) | instid1(SALU_CYCLE_1)
	s_mul_hi_u32 s3, s2, s3
	s_add_co_i32 s2, s2, s3
	s_delay_alu instid0(SALU_CYCLE_1) | instskip(NEXT) | instid1(SALU_CYCLE_1)
	s_mul_hi_u32 s2, s4, s2
	s_mul_i32 s3, s2, s12
	s_delay_alu instid0(SALU_CYCLE_1)
	s_sub_co_i32 s3, s4, s3
	s_add_co_i32 s4, s2, 1
	s_sub_co_i32 s5, s3, s12
	s_cmp_ge_u32 s3, s12
	s_cselect_b32 s2, s4, s2
	s_cselect_b32 s3, s5, s3
	s_add_co_i32 s4, s2, 1
	s_cmp_ge_u32 s3, s12
	s_cselect_b32 s8, s4, s2
.LBB1_3:
	s_load_b32 s4, s[0:1], 0x44
	s_bfe_u32 s5, ttmp6, 0x4000c
	s_and_b32 s6, ttmp6, 15
	s_add_co_i32 s5, s5, 1
	s_lshr_b64 s[2:3], s[8:9], 3
	s_mul_i32 s5, ttmp9, s5
	s_getreg_b32 s8, hwreg(HW_REG_IB_STS2, 6, 4)
	s_add_co_i32 s6, s6, s5
	s_mov_b32 s15, 0
	s_wait_kmcnt 0x0
	s_and_b32 s14, s4, 0xffff
	s_cmp_eq_u32 s8, 0
	s_cselect_b32 s4, ttmp9, s6
	s_delay_alu instid0(SALU_CYCLE_1) | instskip(SKIP_2) | instid1(VALU_DEP_1)
	v_mad_u32 v0, s4, s14, v0
	s_mul_u64 s[4:5], s[2:3], s[12:13]
	s_mov_b32 s2, exec_lo
	v_ashrrev_i32_e32 v1, 31, v0
	s_delay_alu instid0(VALU_DEP_1)
	v_cmpx_gt_u64_e64 s[4:5], v[0:1]
	s_cbranch_execz .LBB1_14
; %bb.4:
	s_load_b32 s6, s[0:1], 0x30
	s_add_nc_u64 s[2:3], s[0:1], 56
	s_load_b128 s[8:11], s[0:1], 0x20
	s_load_b32 s23, s[2:3], 0x0
	s_clause 0x1
	s_load_b64 s[16:17], s[0:1], 0x0
	s_load_b64 s[18:19], s[0:1], 0x18
	v_mov_b32_e32 v3, 0
	s_wait_xcnt 0x0
	s_mov_b32 s1, s15
	s_wait_kmcnt 0x0
	s_bitcmp1_b32 s6, 0
	s_mul_i32 s23, s23, s14
	s_cselect_b32 s2, -1, 0
	s_delay_alu instid0(SALU_CYCLE_1)
	s_xor_b32 s3, s2, -1
	s_bitcmp1_b32 s6, 8
	s_cselect_b32 s2, -1, 0
	s_abs_i32 s6, s12
	s_abs_i32 s22, s7
	s_cvt_f32_u32 s20, s6
	s_cvt_f32_u32 s21, s22
	s_sub_co_i32 s29, 0, s22
	s_add_co_i32 s24, s9, -1
	v_rcp_iflag_f32_e32 v1, s20
	v_rcp_iflag_f32_e32 v2, s21
	s_mul_i32 s20, s9, s8
	s_add_co_i32 s8, s8, -1
	s_ashr_i32 s25, s12, 31
	s_ashr_i32 s26, s7, 31
	;; [unrolled: 1-line block ×3, first 2 shown]
	v_readfirstlane_b32 s0, v1
	v_readfirstlane_b32 s14, v2
	s_sub_co_i32 s27, 0, s12
	s_mul_f32 s0, s0, 0x4f7ffffe
	s_mul_f32 s14, s14, 0x4f7ffffe
	s_delay_alu instid0(SALU_CYCLE_2) | instskip(NEXT) | instid1(SALU_CYCLE_2)
	s_cvt_u32_f32 s0, s0
	s_cvt_u32_f32 s28, s14
	s_sub_co_i32 s14, 0, s6
	s_delay_alu instid0(SALU_CYCLE_1) | instskip(NEXT) | instid1(SALU_CYCLE_1)
	s_mul_i32 s14, s14, s0
	s_mul_i32 s29, s29, s28
	s_mul_hi_u32 s14, s0, s14
	s_mul_hi_u32 s29, s28, s29
	s_add_co_i32 s14, s0, s14
	s_add_co_i32 s0, s28, s29
	s_mov_b32 s28, s15
	s_branch .LBB1_6
.LBB1_5:                                ;   in Loop: Header=BB1_6 Depth=1
	v_dual_lshlrev_b32 v18, 3, v4 :: v_dual_min_i32 v4, s8, v6
	s_delay_alu instid0(VALU_DEP_2) | instskip(SKIP_2) | instid1(VALU_DEP_4)
	v_min_i32_e32 v6, s24, v7
	v_mul_lo_u32 v1, v1, s7
	v_add_nc_u32_e32 v0, s23, v0
	v_mul_lo_u32 v5, v18, s20
	v_mul_lo_u32 v4, v4, s9
	s_delay_alu instid0(VALU_DEP_1) | instskip(NEXT) | instid1(VALU_DEP_1)
	v_add3_u32 v4, v4, v5, v6
	v_ashrrev_i32_e32 v5, 31, v4
	s_delay_alu instid0(VALU_DEP_1) | instskip(NEXT) | instid1(VALU_DEP_1)
	v_add_nc_u64_e32 v[6:7], s[18:19], v[4:5]
	v_add_nc_u64_e32 v[6:7], s[20:21], v[6:7]
	s_clause 0x1
	global_load_u8 v19, v4, s[18:19]
	global_load_u8 v20, v[6:7], off
	v_add_nc_u64_e32 v[8:9], s[20:21], v[6:7]
	s_delay_alu instid0(VALU_DEP_1) | instskip(NEXT) | instid1(VALU_DEP_1)
	v_add_nc_u64_e32 v[10:11], s[20:21], v[8:9]
	v_add_nc_u64_e32 v[12:13], s[20:21], v[10:11]
	s_delay_alu instid0(VALU_DEP_1) | instskip(NEXT) | instid1(VALU_DEP_1)
	v_add_nc_u64_e32 v[14:15], s[20:21], v[12:13]
	v_add_nc_u64_e32 v[16:17], s[20:21], v[14:15]
	s_wait_xcnt 0x1
	s_delay_alu instid0(VALU_DEP_1)
	v_add_nc_u64_e32 v[4:5], s[20:21], v[16:17]
	s_clause 0x5
	global_load_u8 v21, v[8:9], off
	global_load_u8 v22, v[10:11], off
	;; [unrolled: 1-line block ×6, first 2 shown]
	s_wait_xcnt 0x0
	v_mul_lo_u32 v4, v18, s12
	s_delay_alu instid0(VALU_DEP_1) | instskip(SKIP_1) | instid1(VALU_DEP_2)
	v_add3_u32 v4, v1, v4, v2
	v_ashrrev_i32_e32 v1, 31, v0
	v_ashrrev_i32_e32 v5, 31, v4
	s_delay_alu instid0(VALU_DEP_2) | instskip(NEXT) | instid1(VALU_DEP_2)
	v_cmp_le_u64_e32 vcc_lo, s[4:5], v[0:1]
	v_add_nc_u64_e32 v[6:7], s[16:17], v[4:5]
	s_or_b32 s28, vcc_lo, s28
	s_delay_alu instid0(VALU_DEP_1) | instskip(NEXT) | instid1(VALU_DEP_1)
	v_add_nc_u64_e32 v[6:7], s[12:13], v[6:7]
	v_add_nc_u64_e32 v[8:9], s[12:13], v[6:7]
	s_delay_alu instid0(VALU_DEP_1) | instskip(NEXT) | instid1(VALU_DEP_1)
	v_add_nc_u64_e32 v[10:11], s[12:13], v[8:9]
	v_add_nc_u64_e32 v[12:13], s[12:13], v[10:11]
	;; [unrolled: 3-line block ×3, first 2 shown]
	s_wait_loadcnt 0x7
	global_store_b8 v4, v19, s[16:17]
	s_wait_xcnt 0x0
	v_add_nc_u64_e32 v[4:5], s[12:13], v[16:17]
	s_wait_loadcnt 0x6
	global_store_b8 v[6:7], v20, off
	s_wait_loadcnt 0x5
	global_store_b8 v[8:9], v21, off
	;; [unrolled: 2-line block ×7, first 2 shown]
	s_wait_xcnt 0x0
	s_and_not1_b32 exec_lo, exec_lo, s28
	s_cbranch_execz .LBB1_14
.LBB1_6:                                ; =>This Inner Loop Header: Depth=1
	v_sub_nc_u32_e32 v1, 0, v0
	s_mov_b32 s29, -1
	s_delay_alu instid0(VALU_DEP_1) | instskip(NEXT) | instid1(VALU_DEP_1)
	v_max_i32_e32 v2, v0, v1
	v_mul_u64_e32 v[4:5], s[14:15], v[2:3]
	s_delay_alu instid0(VALU_DEP_1) | instskip(SKIP_1) | instid1(VALU_DEP_2)
	v_mul_lo_u32 v1, v5, s6
	v_add_nc_u32_e32 v4, 1, v5
	v_sub_nc_u32_e32 v1, v2, v1
	s_delay_alu instid0(VALU_DEP_1) | instskip(NEXT) | instid1(VALU_DEP_3)
	v_cmp_le_u32_e32 vcc_lo, s6, v1
	v_cndmask_b32_e32 v4, v5, v4, vcc_lo
	v_ashrrev_i32_e32 v5, 31, v0
	v_subrev_nc_u32_e32 v6, s6, v1
	s_delay_alu instid0(VALU_DEP_1) | instskip(NEXT) | instid1(VALU_DEP_1)
	v_dual_cndmask_b32 v1, v1, v6 :: v_dual_add_nc_u32 v6, 1, v4
	v_cmp_le_u32_e32 vcc_lo, s6, v1
	s_delay_alu instid0(VALU_DEP_2) | instskip(NEXT) | instid1(VALU_DEP_1)
	v_dual_cndmask_b32 v1, v4, v6, vcc_lo :: v_dual_bitop2_b32 v7, s25, v5 bitop3:0x14
	v_xor_b32_e32 v1, v1, v7
	s_delay_alu instid0(VALU_DEP_1) | instskip(NEXT) | instid1(VALU_DEP_1)
	v_dual_mov_b32 v7, v3 :: v_dual_sub_nc_u32 v4, v1, v7
	v_mad_u32 v1, s27, v4, v0
	s_delay_alu instid0(VALU_DEP_1) | instskip(SKIP_1) | instid1(VALU_DEP_1)
	v_ashrrev_i32_e32 v1, 31, v1
	v_mul_lo_u32 v6, v4, s12
	v_sub_nc_u32_e32 v6, v1, v6
	s_delay_alu instid0(VALU_DEP_1) | instskip(NEXT) | instid1(VALU_DEP_1)
	v_add_nc_u32_e32 v6, v0, v6
	v_xor_b32_e32 v6, v6, v1
	s_delay_alu instid0(VALU_DEP_1) | instskip(NEXT) | instid1(VALU_DEP_1)
	v_mul_u64_e32 v[8:9], s[0:1], v[6:7]
	v_mul_lo_u32 v7, v9, s22
	s_delay_alu instid0(VALU_DEP_1) | instskip(NEXT) | instid1(VALU_DEP_1)
	v_dual_sub_nc_u32 v6, v6, v7 :: v_dual_add_nc_u32 v7, 1, v9
	v_subrev_nc_u32_e32 v8, s22, v6
	v_cmp_le_u32_e32 vcc_lo, s22, v6
	s_delay_alu instid0(VALU_DEP_2) | instskip(NEXT) | instid1(VALU_DEP_1)
	v_dual_cndmask_b32 v7, v9, v7 :: v_dual_cndmask_b32 v6, v6, v8
	v_add_nc_u32_e32 v8, 1, v7
	s_delay_alu instid0(VALU_DEP_2) | instskip(NEXT) | instid1(VALU_DEP_2)
	v_cmp_le_u32_e32 vcc_lo, s22, v6
	v_dual_cndmask_b32 v6, v7, v8, vcc_lo :: v_dual_bitop2_b32 v1, s26, v1 bitop3:0x14
	s_and_b32 vcc_lo, exec_lo, s3
	s_delay_alu instid0(VALU_DEP_1) | instskip(NEXT) | instid1(VALU_DEP_1)
	v_xor_b32_e32 v6, v6, v1
	v_sub_nc_u32_e32 v1, v6, v1
	s_delay_alu instid0(VALU_DEP_1) | instskip(NEXT) | instid1(VALU_DEP_1)
	v_cvt_f32_i32_e32 v6, v1
	v_add_f32_e32 v7, 0.5, v6
	s_delay_alu instid0(VALU_DEP_1) | instskip(NEXT) | instid1(VALU_DEP_1)
	v_cndmask_b32_e64 v6, v6, v7, s2
	v_mul_f32_e32 v7, s10, v6
                                        ; implicit-def: $vgpr6
	s_cbranch_vccz .LBB1_8
; %bb.7:                                ;   in Loop: Header=BB1_6 Depth=1
	s_delay_alu instid0(VALU_DEP_1)
	v_cvt_i32_f32_e32 v6, v7
	s_mov_b32 s29, 0
.LBB1_8:                                ;   in Loop: Header=BB1_6 Depth=1
	s_delay_alu instid0(SALU_CYCLE_1)
	s_and_not1_b32 vcc_lo, exec_lo, s29
	s_cbranch_vccnz .LBB1_10
; %bb.9:                                ;   in Loop: Header=BB1_6 Depth=1
	s_delay_alu instid0(VALU_DEP_1) | instskip(NEXT) | instid1(VALU_DEP_1)
	v_trunc_f32_e32 v6, v7
	v_sub_f32_e32 v8, v7, v6
	s_delay_alu instid0(VALU_DEP_1) | instskip(NEXT) | instid1(VALU_DEP_1)
	v_cmp_ge_f32_e64 s29, |v8|, 0.5
	v_cndmask_b32_e64 v8, 0, 1.0, s29
	s_delay_alu instid0(VALU_DEP_1) | instskip(NEXT) | instid1(VALU_DEP_1)
	v_bfi_b32 v7, 0x7fffffff, v8, v7
	v_add_f32_e32 v6, v6, v7
	s_delay_alu instid0(VALU_DEP_1) | instskip(NEXT) | instid1(VALU_DEP_1)
	v_trunc_f32_e32 v6, v6
	v_mul_f32_e64 v7, 0x2f800000, |v6|
	s_delay_alu instid0(VALU_DEP_1) | instskip(NEXT) | instid1(VALU_DEP_1)
	v_floor_f32_e32 v7, v7
	v_fma_f32 v7, 0xcf800000, v7, |v6|
	v_ashrrev_i32_e32 v6, 31, v6
	s_delay_alu instid0(VALU_DEP_2) | instskip(NEXT) | instid1(VALU_DEP_1)
	v_cvt_u32_f32_e32 v7, v7
	v_xor_b32_e32 v7, v7, v6
	s_delay_alu instid0(VALU_DEP_1)
	v_sub_nc_u32_e32 v6, v7, v6
.LBB1_10:                               ;   in Loop: Header=BB1_6 Depth=1
	v_mul_u64_e32 v[8:9], s[0:1], v[2:3]
	s_mov_b32 s29, -1
	s_delay_alu instid0(VALU_DEP_1) | instskip(NEXT) | instid1(VALU_DEP_1)
	v_mul_lo_u32 v7, v9, s22
	v_sub_nc_u32_e32 v2, v2, v7
	s_delay_alu instid0(VALU_DEP_1) | instskip(SKIP_1) | instid1(VALU_DEP_2)
	v_subrev_nc_u32_e32 v7, s22, v2
	v_cmp_le_u32_e32 vcc_lo, s22, v2
	v_cndmask_b32_e32 v2, v2, v7, vcc_lo
	s_delay_alu instid0(VALU_DEP_1) | instskip(SKIP_1) | instid1(VALU_DEP_2)
	v_subrev_nc_u32_e32 v7, s22, v2
	v_cmp_le_u32_e32 vcc_lo, s22, v2
	v_cndmask_b32_e32 v2, v2, v7, vcc_lo
	s_and_b32 vcc_lo, exec_lo, s3
	s_delay_alu instid0(VALU_DEP_1) | instskip(NEXT) | instid1(VALU_DEP_1)
	v_xor_b32_e32 v2, v2, v5
	v_sub_nc_u32_e32 v2, v2, v5
	s_delay_alu instid0(VALU_DEP_1) | instskip(NEXT) | instid1(VALU_DEP_1)
	v_cvt_f32_i32_e32 v5, v2
	v_add_f32_e32 v7, 0.5, v5
	s_delay_alu instid0(VALU_DEP_1) | instskip(NEXT) | instid1(VALU_DEP_1)
	v_cndmask_b32_e64 v5, v5, v7, s2
                                        ; implicit-def: $vgpr7
	v_mul_f32_e32 v5, s11, v5
	s_cbranch_vccz .LBB1_12
; %bb.11:                               ;   in Loop: Header=BB1_6 Depth=1
	s_delay_alu instid0(VALU_DEP_1)
	v_cvt_i32_f32_e32 v7, v5
	s_mov_b32 s29, 0
.LBB1_12:                               ;   in Loop: Header=BB1_6 Depth=1
	s_delay_alu instid0(SALU_CYCLE_1)
	s_and_not1_b32 vcc_lo, exec_lo, s29
	s_cbranch_vccnz .LBB1_5
; %bb.13:                               ;   in Loop: Header=BB1_6 Depth=1
	s_delay_alu instid0(VALU_DEP_1) | instskip(NEXT) | instid1(VALU_DEP_1)
	v_trunc_f32_e32 v7, v5
	v_sub_f32_e32 v8, v5, v7
	s_delay_alu instid0(VALU_DEP_1) | instskip(NEXT) | instid1(VALU_DEP_1)
	v_cmp_ge_f32_e64 s29, |v8|, 0.5
	v_cndmask_b32_e64 v8, 0, 1.0, s29
	s_delay_alu instid0(VALU_DEP_1) | instskip(NEXT) | instid1(VALU_DEP_1)
	v_bfi_b32 v5, 0x7fffffff, v8, v5
	v_add_f32_e32 v5, v7, v5
	s_delay_alu instid0(VALU_DEP_1) | instskip(NEXT) | instid1(VALU_DEP_1)
	v_trunc_f32_e32 v5, v5
	v_mul_f32_e64 v7, 0x2f800000, |v5|
	s_delay_alu instid0(VALU_DEP_1) | instskip(NEXT) | instid1(VALU_DEP_1)
	v_floor_f32_e32 v7, v7
	v_fma_f32 v7, 0xcf800000, v7, |v5|
	v_ashrrev_i32_e32 v5, 31, v5
	s_delay_alu instid0(VALU_DEP_2) | instskip(NEXT) | instid1(VALU_DEP_1)
	v_cvt_u32_f32_e32 v7, v7
	v_xor_b32_e32 v7, v7, v5
	s_delay_alu instid0(VALU_DEP_1)
	v_sub_nc_u32_e32 v7, v7, v5
	s_branch .LBB1_5
.LBB1_14:
	s_endpgm
.LBB1_15:
                                        ; implicit-def: $sgpr8_sgpr9
	s_branch .LBB1_2
	.section	.rodata,"a",@progbits
	.p2align	6, 0x0
	.amdhsa_kernel _Z6resizeIhLm8EEvPT_miiPKS0_iiffbb
		.amdhsa_group_segment_fixed_size 0
		.amdhsa_private_segment_fixed_size 0
		.amdhsa_kernarg_size 312
		.amdhsa_user_sgpr_count 2
		.amdhsa_user_sgpr_dispatch_ptr 0
		.amdhsa_user_sgpr_queue_ptr 0
		.amdhsa_user_sgpr_kernarg_segment_ptr 1
		.amdhsa_user_sgpr_dispatch_id 0
		.amdhsa_user_sgpr_kernarg_preload_length 0
		.amdhsa_user_sgpr_kernarg_preload_offset 0
		.amdhsa_user_sgpr_private_segment_size 0
		.amdhsa_wavefront_size32 1
		.amdhsa_uses_dynamic_stack 0
		.amdhsa_enable_private_segment 0
		.amdhsa_system_sgpr_workgroup_id_x 1
		.amdhsa_system_sgpr_workgroup_id_y 0
		.amdhsa_system_sgpr_workgroup_id_z 0
		.amdhsa_system_sgpr_workgroup_info 0
		.amdhsa_system_vgpr_workitem_id 0
		.amdhsa_next_free_vgpr 27
		.amdhsa_next_free_sgpr 30
		.amdhsa_named_barrier_count 0
		.amdhsa_reserve_vcc 1
		.amdhsa_float_round_mode_32 0
		.amdhsa_float_round_mode_16_64 0
		.amdhsa_float_denorm_mode_32 3
		.amdhsa_float_denorm_mode_16_64 3
		.amdhsa_fp16_overflow 0
		.amdhsa_memory_ordered 1
		.amdhsa_forward_progress 1
		.amdhsa_inst_pref_size 17
		.amdhsa_round_robin_scheduling 0
		.amdhsa_exception_fp_ieee_invalid_op 0
		.amdhsa_exception_fp_denorm_src 0
		.amdhsa_exception_fp_ieee_div_zero 0
		.amdhsa_exception_fp_ieee_overflow 0
		.amdhsa_exception_fp_ieee_underflow 0
		.amdhsa_exception_fp_ieee_inexact 0
		.amdhsa_exception_int_div_zero 0
	.end_amdhsa_kernel
	.section	.text._Z6resizeIhLm8EEvPT_miiPKS0_iiffbb,"axG",@progbits,_Z6resizeIhLm8EEvPT_miiPKS0_iiffbb,comdat
.Lfunc_end1:
	.size	_Z6resizeIhLm8EEvPT_miiPKS0_iiffbb, .Lfunc_end1-_Z6resizeIhLm8EEvPT_miiPKS0_iiffbb
                                        ; -- End function
	.set _Z6resizeIhLm8EEvPT_miiPKS0_iiffbb.num_vgpr, 27
	.set _Z6resizeIhLm8EEvPT_miiPKS0_iiffbb.num_agpr, 0
	.set _Z6resizeIhLm8EEvPT_miiPKS0_iiffbb.numbered_sgpr, 30
	.set _Z6resizeIhLm8EEvPT_miiPKS0_iiffbb.num_named_barrier, 0
	.set _Z6resizeIhLm8EEvPT_miiPKS0_iiffbb.private_seg_size, 0
	.set _Z6resizeIhLm8EEvPT_miiPKS0_iiffbb.uses_vcc, 1
	.set _Z6resizeIhLm8EEvPT_miiPKS0_iiffbb.uses_flat_scratch, 0
	.set _Z6resizeIhLm8EEvPT_miiPKS0_iiffbb.has_dyn_sized_stack, 0
	.set _Z6resizeIhLm8EEvPT_miiPKS0_iiffbb.has_recursion, 0
	.set _Z6resizeIhLm8EEvPT_miiPKS0_iiffbb.has_indirect_call, 0
	.section	.AMDGPU.csdata,"",@progbits
; Kernel info:
; codeLenInByte = 2072
; TotalNumSgprs: 32
; NumVgprs: 27
; ScratchSize: 0
; MemoryBound: 0
; FloatMode: 240
; IeeeMode: 1
; LDSByteSize: 0 bytes/workgroup (compile time only)
; SGPRBlocks: 0
; VGPRBlocks: 1
; NumSGPRsForWavesPerEU: 32
; NumVGPRsForWavesPerEU: 27
; NamedBarCnt: 0
; Occupancy: 16
; WaveLimiterHint : 0
; COMPUTE_PGM_RSRC2:SCRATCH_EN: 0
; COMPUTE_PGM_RSRC2:USER_SGPR: 2
; COMPUTE_PGM_RSRC2:TRAP_HANDLER: 0
; COMPUTE_PGM_RSRC2:TGID_X_EN: 1
; COMPUTE_PGM_RSRC2:TGID_Y_EN: 0
; COMPUTE_PGM_RSRC2:TGID_Z_EN: 0
; COMPUTE_PGM_RSRC2:TIDIG_COMP_CNT: 0
	.section	.text._Z15resize_bilinearItLm8EEvPT_miiPKS0_iiffb,"axG",@progbits,_Z15resize_bilinearItLm8EEvPT_miiPKS0_iiffb,comdat
	.protected	_Z15resize_bilinearItLm8EEvPT_miiPKS0_iiffb ; -- Begin function _Z15resize_bilinearItLm8EEvPT_miiPKS0_iiffb
	.globl	_Z15resize_bilinearItLm8EEvPT_miiPKS0_iiffb
	.p2align	8
	.type	_Z15resize_bilinearItLm8EEvPT_miiPKS0_iiffb,@function
_Z15resize_bilinearItLm8EEvPT_miiPKS0_iiffb: ; @_Z15resize_bilinearItLm8EEvPT_miiPKS0_iiffb
; %bb.0:
	s_load_b128 s[4:7], s[0:1], 0x8
	s_wait_kmcnt 0x0
	s_mul_i32 s2, s7, s6
	s_delay_alu instid0(SALU_CYCLE_1) | instskip(NEXT) | instid1(SALU_CYCLE_1)
	s_ashr_i32 s3, s2, 31
	s_or_b64 s[8:9], s[4:5], s[2:3]
	s_delay_alu instid0(SALU_CYCLE_1) | instskip(NEXT) | instid1(SALU_CYCLE_1)
	s_and_b64 s[8:9], s[8:9], 0xffffffff00000000
	s_cmp_lg_u64 s[8:9], 0
	s_cbranch_scc0 .LBB2_18
; %bb.1:
	s_cvt_f32_u32 s8, s2
	s_cvt_f32_u32 s9, s3
	s_sub_nc_u64 s[12:13], 0, s[2:3]
	s_delay_alu instid0(SALU_CYCLE_2) | instskip(NEXT) | instid1(SALU_CYCLE_3)
	s_fmamk_f32 s8, s9, 0x4f800000, s8
	v_s_rcp_f32 s8, s8
	s_delay_alu instid0(TRANS32_DEP_1) | instskip(NEXT) | instid1(SALU_CYCLE_3)
	s_mul_f32 s8, s8, 0x5f7ffffc
	s_mul_f32 s9, s8, 0x2f800000
	s_delay_alu instid0(SALU_CYCLE_3) | instskip(NEXT) | instid1(SALU_CYCLE_3)
	s_trunc_f32 s9, s9
	s_fmamk_f32 s8, s9, 0xcf800000, s8
	s_cvt_u32_f32 s11, s9
	s_mov_b32 s9, 0
	s_delay_alu instid0(SALU_CYCLE_1) | instskip(NEXT) | instid1(SALU_CYCLE_3)
	s_cvt_u32_f32 s10, s8
	s_mul_u64 s[14:15], s[12:13], s[10:11]
	s_delay_alu instid0(SALU_CYCLE_1)
	s_mul_hi_u32 s17, s10, s15
	s_mul_i32 s16, s10, s15
	s_mul_hi_u32 s8, s10, s14
	s_mul_i32 s19, s11, s14
	s_add_nc_u64 s[16:17], s[8:9], s[16:17]
	s_mul_hi_u32 s18, s11, s14
	s_mul_hi_u32 s20, s11, s15
	s_add_co_u32 s8, s16, s19
	s_add_co_ci_u32 s8, s17, s18
	s_mul_i32 s14, s11, s15
	s_add_co_ci_u32 s15, s20, 0
	s_delay_alu instid0(SALU_CYCLE_1) | instskip(NEXT) | instid1(SALU_CYCLE_1)
	s_add_nc_u64 s[14:15], s[8:9], s[14:15]
	s_add_co_u32 s10, s10, s14
	s_cselect_b32 s8, -1, 0
	s_delay_alu instid0(SALU_CYCLE_1) | instskip(SKIP_1) | instid1(SALU_CYCLE_1)
	s_cmp_lg_u32 s8, 0
	s_add_co_ci_u32 s11, s11, s15
	s_mul_u64 s[12:13], s[12:13], s[10:11]
	s_delay_alu instid0(SALU_CYCLE_1)
	s_mul_hi_u32 s15, s10, s13
	s_mul_i32 s14, s10, s13
	s_mul_hi_u32 s8, s10, s12
	s_mul_i32 s17, s11, s12
	s_add_nc_u64 s[14:15], s[8:9], s[14:15]
	s_mul_hi_u32 s16, s11, s12
	s_mul_hi_u32 s18, s11, s13
	s_add_co_u32 s8, s14, s17
	s_add_co_ci_u32 s8, s15, s16
	s_mul_i32 s12, s11, s13
	s_add_co_ci_u32 s13, s18, 0
	s_delay_alu instid0(SALU_CYCLE_1) | instskip(NEXT) | instid1(SALU_CYCLE_1)
	s_add_nc_u64 s[12:13], s[8:9], s[12:13]
	s_add_co_u32 s10, s10, s12
	s_cselect_b32 s12, -1, 0
	s_mul_hi_u32 s8, s4, s10
	s_cmp_lg_u32 s12, 0
	s_mul_hi_u32 s14, s5, s10
	s_add_co_ci_u32 s12, s11, s13
	s_mul_i32 s13, s5, s10
	s_mul_hi_u32 s11, s4, s12
	s_mul_i32 s10, s4, s12
	s_mul_hi_u32 s15, s5, s12
	s_add_nc_u64 s[10:11], s[8:9], s[10:11]
	s_mul_i32 s12, s5, s12
	s_add_co_u32 s8, s10, s13
	s_add_co_ci_u32 s8, s11, s14
	s_add_co_ci_u32 s13, s15, 0
	s_delay_alu instid0(SALU_CYCLE_1) | instskip(NEXT) | instid1(SALU_CYCLE_1)
	s_add_nc_u64 s[10:11], s[8:9], s[12:13]
	s_and_b64 s[12:13], s[10:11], 0xffffffff00000000
	s_delay_alu instid0(SALU_CYCLE_1) | instskip(NEXT) | instid1(SALU_CYCLE_1)
	s_or_b32 s12, s12, s10
	s_mul_u64 s[10:11], s[2:3], s[12:13]
	s_delay_alu instid0(SALU_CYCLE_1)
	s_sub_co_u32 s8, s4, s10
	s_cselect_b32 s10, -1, 0
	s_sub_co_i32 s14, s5, s11
	s_cmp_lg_u32 s10, 0
	s_sub_co_ci_u32 s14, s14, s3
	s_sub_co_u32 s15, s8, s2
	s_cselect_b32 s16, -1, 0
	s_delay_alu instid0(SALU_CYCLE_1) | instskip(SKIP_1) | instid1(SALU_CYCLE_1)
	s_cmp_lg_u32 s16, 0
	s_sub_co_ci_u32 s14, s14, 0
	s_cmp_ge_u32 s14, s3
	s_cselect_b32 s16, -1, 0
	s_cmp_ge_u32 s15, s2
	s_cselect_b32 s17, -1, 0
	s_cmp_eq_u32 s14, s3
	s_add_nc_u64 s[14:15], s[12:13], 1
	s_cselect_b32 s18, s17, s16
	s_add_nc_u64 s[16:17], s[12:13], 2
	s_cmp_lg_u32 s18, 0
	s_cselect_b32 s14, s16, s14
	s_cselect_b32 s15, s17, s15
	s_cmp_lg_u32 s10, 0
	s_sub_co_ci_u32 s5, s5, s11
	s_delay_alu instid0(SALU_CYCLE_1)
	s_cmp_ge_u32 s5, s3
	s_cselect_b32 s10, -1, 0
	s_cmp_ge_u32 s8, s2
	s_cselect_b32 s8, -1, 0
	s_cmp_eq_u32 s5, s3
	s_cselect_b32 s5, s8, s10
	s_delay_alu instid0(SALU_CYCLE_1)
	s_cmp_lg_u32 s5, 0
	s_cselect_b32 s11, s15, s13
	s_cselect_b32 s10, s14, s12
	s_cbranch_execnz .LBB2_3
.LBB2_2:
	v_cvt_f32_u32_e32 v1, s2
	s_sub_co_i32 s8, 0, s2
	s_mov_b32 s11, 0
	s_delay_alu instid0(VALU_DEP_1) | instskip(SKIP_1) | instid1(TRANS32_DEP_1)
	v_rcp_iflag_f32_e32 v1, v1
	v_nop
	v_mul_f32_e32 v1, 0x4f7ffffe, v1
	s_delay_alu instid0(VALU_DEP_1) | instskip(NEXT) | instid1(VALU_DEP_1)
	v_cvt_u32_f32_e32 v1, v1
	v_readfirstlane_b32 s5, v1
	s_mul_i32 s8, s8, s5
	s_delay_alu instid0(SALU_CYCLE_1) | instskip(NEXT) | instid1(SALU_CYCLE_1)
	s_mul_hi_u32 s8, s5, s8
	s_add_co_i32 s5, s5, s8
	s_delay_alu instid0(SALU_CYCLE_1) | instskip(NEXT) | instid1(SALU_CYCLE_1)
	s_mul_hi_u32 s5, s4, s5
	s_mul_i32 s8, s5, s2
	s_delay_alu instid0(SALU_CYCLE_1)
	s_sub_co_i32 s4, s4, s8
	s_add_co_i32 s8, s5, 1
	s_sub_co_i32 s9, s4, s2
	s_cmp_ge_u32 s4, s2
	s_cselect_b32 s5, s8, s5
	s_cselect_b32 s4, s9, s4
	s_add_co_i32 s8, s5, 1
	s_cmp_ge_u32 s4, s2
	s_cselect_b32 s10, s8, s5
.LBB2_3:
	s_load_b32 s8, s[0:1], 0x44
	s_bfe_u32 s9, ttmp6, 0x4000c
	s_lshr_b64 s[4:5], s[10:11], 3
	s_add_co_i32 s9, s9, 1
	s_and_b32 s10, ttmp6, 15
	s_mul_i32 s9, ttmp9, s9
	s_getreg_b32 s11, hwreg(HW_REG_IB_STS2, 6, 4)
	s_add_co_i32 s10, s10, s9
	s_mul_u64 s[4:5], s[4:5], s[2:3]
	s_mov_b32 s13, 0
	s_wait_kmcnt 0x0
	s_and_b32 s12, s8, 0xffff
	s_cmp_eq_u32 s11, 0
	s_cselect_b32 s8, ttmp9, s10
	v_nop
	v_mad_u32 v0, s8, s12, v0
	s_mov_b32 s8, exec_lo
	s_delay_alu instid0(VALU_DEP_1) | instskip(NEXT) | instid1(VALU_DEP_1)
	v_ashrrev_i32_e32 v1, 31, v0
	v_cmpx_gt_u64_e64 s[4:5], v[0:1]
	s_cbranch_execz .LBB2_17
; %bb.4:
	s_clause 0x1
	s_load_b32 s20, s[0:1], 0x30
	s_load_b128 s[8:11], s[0:1], 0x20
	s_add_nc_u64 s[18:19], s[0:1], 56
	s_load_b32 s30, s[18:19], 0x0
	s_clause 0x1
	s_load_b64 s[14:15], s[0:1], 0x0
	s_load_b64 s[16:17], s[0:1], 0x18
	v_mov_b32_e32 v3, 0
	s_wait_xcnt 0x0
	s_mov_b32 s1, s13
	s_wait_kmcnt 0x0
	s_bitcmp1_b32 s20, 0
	s_mul_i32 s18, s9, s8
	s_cselect_b32 s0, -1, 0
	s_abs_i32 s28, s2
	s_abs_i32 s29, s7
	s_cvt_f32_u32 s19, s28
	s_cvt_f32_u32 s20, s29
	s_mul_i32 s30, s30, s12
	s_lshl_b64 s[22:23], s[2:3], 1
	v_rcp_iflag_f32_e32 v1, s19
	v_rcp_iflag_f32_e32 v2, s20
	s_xor_b32 s3, s0, -1
	s_sub_co_i32 s26, 0, s28
	s_sub_co_i32 s27, 0, s29
	s_ashr_i32 s19, s18, 31
	s_add_co_i32 s20, s9, -1
	v_readfirstlane_b32 s12, v1
	v_readfirstlane_b32 s21, v2
	s_lshl_b64 s[24:25], s[18:19], 1
	s_add_co_i32 s8, s8, -1
	s_ashr_i32 s31, s2, 31
	s_mul_f32 s0, s12, 0x4f7ffffe
	s_mul_f32 s12, s21, 0x4f7ffffe
	s_ashr_i32 s33, s7, 31
	s_ashr_i32 s21, s20, 31
	s_cvt_u32_f32 s0, s0
	s_cvt_u32_f32 s34, s12
	s_delay_alu instid0(SALU_CYCLE_2) | instskip(NEXT) | instid1(SALU_CYCLE_2)
	s_mul_i32 s26, s26, s0
	s_mul_i32 s27, s27, s34
	s_mul_hi_u32 s12, s0, s26
	s_mul_hi_u32 s19, s34, s27
	s_add_co_i32 s12, s0, s12
	s_add_co_i32 s0, s34, s19
	s_mov_b32 s19, s13
	s_branch .LBB2_6
.LBB2_5:                                ;   in Loop: Header=BB2_6 Depth=1
	s_or_b32 exec_lo, exec_lo, s34
	v_add_nc_u32_e32 v0, s30, v0
	s_delay_alu instid0(VALU_DEP_1) | instskip(NEXT) | instid1(VALU_DEP_1)
	v_ashrrev_i32_e32 v1, 31, v0
	v_cmp_le_u64_e32 vcc_lo, s[4:5], v[0:1]
	s_or_b32 s19, vcc_lo, s19
	s_delay_alu instid0(SALU_CYCLE_1)
	s_and_not1_b32 exec_lo, exec_lo, s19
	s_cbranch_execz .LBB2_17
.LBB2_6:                                ; =>This Loop Header: Depth=1
                                        ;     Child Loop BB2_16 Depth 2
	v_sub_nc_u32_e32 v1, 0, v0
	s_mov_b32 s26, -1
	s_delay_alu instid0(VALU_DEP_1) | instskip(NEXT) | instid1(VALU_DEP_1)
	v_max_i32_e32 v2, v0, v1
	v_mul_u64_e32 v[4:5], s[0:1], v[2:3]
	s_delay_alu instid0(VALU_DEP_1) | instskip(NEXT) | instid1(VALU_DEP_1)
	v_mul_lo_u32 v1, v5, s29
	v_sub_nc_u32_e32 v1, v2, v1
	s_delay_alu instid0(VALU_DEP_1) | instskip(SKIP_1) | instid1(VALU_DEP_2)
	v_subrev_nc_u32_e32 v4, s29, v1
	v_cmp_le_u32_e32 vcc_lo, s29, v1
	v_cndmask_b32_e32 v4, v1, v4, vcc_lo
	v_ashrrev_i32_e32 v1, 31, v0
	s_delay_alu instid0(VALU_DEP_2) | instskip(SKIP_1) | instid1(VALU_DEP_2)
	v_subrev_nc_u32_e32 v5, s29, v4
	v_cmp_le_u32_e32 vcc_lo, s29, v4
	v_cndmask_b32_e32 v4, v4, v5, vcc_lo
	s_and_b32 vcc_lo, exec_lo, s3
	s_delay_alu instid0(VALU_DEP_1) | instskip(NEXT) | instid1(VALU_DEP_1)
	v_xor_b32_e32 v6, v4, v1
	v_sub_nc_u32_e32 v4, v6, v1
	s_delay_alu instid0(VALU_DEP_1)
	v_cvt_f32_i32_e32 v5, v4
                                        ; implicit-def: $vgpr4
	s_cbranch_vccz .LBB2_8
; %bb.7:                                ;   in Loop: Header=BB2_6 Depth=1
	s_delay_alu instid0(VALU_DEP_1)
	v_mul_f32_e32 v4, s11, v5
	s_mov_b32 s26, 0
.LBB2_8:                                ;   in Loop: Header=BB2_6 Depth=1
	s_delay_alu instid0(SALU_CYCLE_1)
	s_and_not1_b32 vcc_lo, exec_lo, s26
	s_cbranch_vccnz .LBB2_10
; %bb.9:                                ;   in Loop: Header=BB2_6 Depth=1
	s_delay_alu instid0(VALU_DEP_1) | instskip(NEXT) | instid1(VALU_DEP_1)
	v_add_f32_e32 v4, 0.5, v5
	v_fma_f32 v4, s11, v4, -0.5
	s_delay_alu instid0(VALU_DEP_1)
	v_max_num_f32_e32 v4, 0, v4
.LBB2_10:                               ;   in Loop: Header=BB2_6 Depth=1
	v_mul_u64_e32 v[8:9], s[12:13], v[2:3]
	s_mov_b32 s26, -1
	s_delay_alu instid0(VALU_DEP_1) | instskip(NEXT) | instid1(VALU_DEP_1)
	v_mul_lo_u32 v5, v9, s28
	v_sub_nc_u32_e32 v2, v2, v5
	s_delay_alu instid0(VALU_DEP_1) | instskip(SKIP_1) | instid1(VALU_DEP_1)
	v_cmp_le_u32_e32 vcc_lo, s28, v2
	v_add_nc_u32_e32 v5, 1, v9
	v_cndmask_b32_e32 v5, v9, v5, vcc_lo
	v_subrev_nc_u32_e32 v7, s28, v2
	s_delay_alu instid0(VALU_DEP_1) | instskip(NEXT) | instid1(VALU_DEP_1)
	v_cndmask_b32_e32 v2, v2, v7, vcc_lo
	v_cmp_le_u32_e32 vcc_lo, s28, v2
	v_xor_b32_e32 v8, s31, v1
	v_add_nc_u32_e32 v7, 1, v5
	s_delay_alu instid0(VALU_DEP_1) | instskip(NEXT) | instid1(VALU_DEP_1)
	v_cndmask_b32_e32 v2, v5, v7, vcc_lo
	v_xor_b32_e32 v2, v2, v8
	s_delay_alu instid0(VALU_DEP_1) | instskip(NEXT) | instid1(VALU_DEP_1)
	v_sub_nc_u32_e32 v9, v2, v8
	v_mul_lo_u32 v2, v9, s2
	s_delay_alu instid0(VALU_DEP_1) | instskip(NEXT) | instid1(VALU_DEP_1)
	v_sub_nc_u32_e32 v5, v0, v2
	v_sub_nc_u32_e32 v2, 0, v5
	s_delay_alu instid0(VALU_DEP_1) | instskip(NEXT) | instid1(VALU_DEP_1)
	v_dual_ashrrev_i32 v5, 31, v5 :: v_dual_max_i32 v2, v5, v2
	v_mul_u64_e32 v[10:11], s[0:1], v[2:3]
	s_delay_alu instid0(VALU_DEP_1) | instskip(NEXT) | instid1(VALU_DEP_1)
	v_mul_lo_u32 v7, v11, s29
	v_sub_nc_u32_e32 v2, v2, v7
	v_add_nc_u32_e32 v7, 1, v11
	s_delay_alu instid0(VALU_DEP_2) | instskip(SKIP_1) | instid1(VALU_DEP_2)
	v_subrev_nc_u32_e32 v8, s29, v2
	v_cmp_le_u32_e32 vcc_lo, s29, v2
	v_dual_cndmask_b32 v10, v11, v7, vcc_lo :: v_dual_cndmask_b32 v2, v2, v8, vcc_lo
	s_delay_alu instid0(VALU_DEP_1) | instskip(NEXT) | instid1(VALU_DEP_2)
	v_add_nc_u32_e32 v8, 1, v10
	v_cmp_le_u32_e32 vcc_lo, s29, v2
	s_delay_alu instid0(VALU_DEP_2) | instskip(SKIP_1) | instid1(VALU_DEP_1)
	v_dual_cndmask_b32 v2, v10, v8, vcc_lo :: v_dual_bitop2_b32 v7, s33, v5 bitop3:0x14
	s_and_b32 vcc_lo, exec_lo, s3
	v_xor_b32_e32 v8, v2, v7
	s_delay_alu instid0(VALU_DEP_1) | instskip(NEXT) | instid1(VALU_DEP_1)
	v_sub_nc_u32_e32 v2, v8, v7
	v_cvt_f32_i32_e32 v2, v2
	s_cbranch_vccz .LBB2_12
; %bb.11:                               ;   in Loop: Header=BB2_6 Depth=1
	s_delay_alu instid0(VALU_DEP_1)
	v_mul_f32_e32 v5, s10, v2
	s_mov_b32 s26, 0
.LBB2_12:                               ;   in Loop: Header=BB2_6 Depth=1
	s_delay_alu instid0(SALU_CYCLE_1)
	s_and_not1_b32 vcc_lo, exec_lo, s26
	s_cbranch_vccnz .LBB2_14
; %bb.13:                               ;   in Loop: Header=BB2_6 Depth=1
	s_delay_alu instid0(VALU_DEP_1) | instskip(NEXT) | instid1(VALU_DEP_1)
	v_add_f32_e32 v2, 0.5, v2
	v_fma_f32 v2, s10, v2, -0.5
	s_delay_alu instid0(VALU_DEP_1)
	v_max_num_f32_e32 v5, 0, v2
.LBB2_14:                               ;   in Loop: Header=BB2_6 Depth=1
	v_lshlrev_b32_e32 v2, 3, v9
	s_mov_b32 s34, exec_lo
	s_delay_alu instid0(VALU_DEP_1)
	v_cmpx_ne_u32_e32 0x7ffffff8, v2
	s_cbranch_execz .LBB2_5
; %bb.15:                               ;   in Loop: Header=BB2_6 Depth=1
	v_cvt_i32_f32_e32 v10, v4
	v_mad_u32 v14, s6, v2, v8
	v_cvt_i32_f32_e32 v11, v5
	v_mul_lo_u32 v9, v2, s18
	s_mov_b64 s[26:27], 0
	v_add_nc_u32_e32 v12, 1, v10
	s_mov_b32 s35, 0
	v_min_i32_e32 v8, s8, v11
	v_add_min_i32_e64 v15, v11, 1, s8
	s_delay_alu instid0(VALU_DEP_3) | instskip(SKIP_1) | instid1(VALU_DEP_4)
	v_dual_ashrrev_i32 v13, 31, v12 :: v_dual_sub_nc_u32 v7, v14, v7
	v_cvt_f32_i32_e32 v14, v10
	v_mad_u32 v8, v8, s9, v9
	s_delay_alu instid0(VALU_DEP_3) | instskip(SKIP_4) | instid1(VALU_DEP_2)
	v_min_i64 v[12:13], s[20:21], v[12:13]
	v_mad_u32 v16, v15, s9, v9
	v_mad_u32 v18, s7, v7, v6
	v_cvt_f32_i32_e32 v15, v11
	v_ashrrev_i32_e32 v11, 31, v10
	v_pk_add_f32 v[4:5], v[4:5], v[14:15] neg_lo:[0,1] neg_hi:[0,1]
	v_ashrrev_i32_e32 v9, 31, v8
	v_dual_ashrrev_i32 v17, 31, v16 :: v_dual_sub_nc_u32 v18, v18, v1
	s_delay_alu instid0(VALU_DEP_3) | instskip(NEXT) | instid1(VALU_DEP_4)
	v_cvt_u32_f32_e32 v14, v4
	v_cvt_u32_f32_e32 v15, v5
	s_delay_alu instid0(VALU_DEP_4) | instskip(NEXT) | instid1(VALU_DEP_4)
	v_add_nc_u64_e32 v[4:5], v[10:11], v[8:9]
	v_add_nc_u64_e32 v[6:7], v[10:11], v[16:17]
	v_ashrrev_i32_e32 v19, 31, v18
	v_add_nc_u32_e32 v1, 8, v2
	v_perm_b32 v15, v15, v14, 0x5040100
	v_lshl_add_u64 v[4:5], v[4:5], 1, s[16:17]
	v_lshl_add_u64 v[6:7], v[6:7], 1, s[16:17]
	v_add_nc_u64_e32 v[8:9], v[12:13], v[8:9]
	v_add_nc_u64_e32 v[10:11], v[12:13], v[16:17]
	v_lshl_add_u64 v[12:13], v[18:19], 1, s[14:15]
	s_delay_alu instid0(VALU_DEP_3) | instskip(NEXT) | instid1(VALU_DEP_3)
	v_lshl_add_u64 v[8:9], v[8:9], 1, s[16:17]
	v_lshl_add_u64 v[10:11], v[10:11], 1, s[16:17]
.LBB2_16:                               ;   Parent Loop BB2_6 Depth=1
                                        ; =>  This Inner Loop Header: Depth=2
	s_delay_alu instid0(VALU_DEP_2)
	v_add_nc_u64_e32 v[16:17], s[26:27], v[8:9]
	v_add_nc_u64_e32 v[18:19], s[26:27], v[6:7]
	;; [unrolled: 1-line block ×3, first 2 shown]
	s_clause 0x2
	global_load_u16 v22, v[16:17], off
	global_load_u16 v23, v[18:19], off
	;; [unrolled: 1-line block ×3, first 2 shown]
	s_wait_xcnt 0x2
	v_add_nc_u64_e32 v[16:17], s[26:27], v[10:11]
	s_add_nc_u64 s[26:27], s[26:27], s[24:25]
	v_add_nc_u32_e32 v2, 1, v2
	global_load_u16 v16, v[16:17], off
	v_cmp_ge_i32_e32 vcc_lo, v2, v1
	s_or_b32 s35, vcc_lo, s35
	s_wait_loadcnt 0x2
	s_wait_xcnt 0x0
	v_add_nc_u16 v17, v22, v23
	s_wait_loadcnt 0x1
	v_sub_nc_u16 v18, v23, v24
	s_delay_alu instid0(VALU_DEP_2) | instskip(SKIP_1) | instid1(VALU_DEP_1)
	v_sub_nc_u16 v17, v24, v17
	s_wait_loadcnt 0x0
	v_add_nc_u16 v16, v17, v16
	v_sub_nc_u16 v17, v22, v24
	s_delay_alu instid0(VALU_DEP_2) | instskip(NEXT) | instid1(VALU_DEP_1)
	v_mad_u16 v16, v16, v14, v18
	v_perm_b32 v16, v16, v17, 0x5040100
	s_delay_alu instid0(VALU_DEP_1) | instskip(NEXT) | instid1(VALU_DEP_1)
	v_pk_mul_lo_u16 v16, v16, v15
	v_add_nc_u16 v17, v16, v24
	v_lshrrev_b32_e32 v16, 16, v16
	s_delay_alu instid0(VALU_DEP_1)
	v_add_nc_u16 v16, v17, v16
	global_store_b16 v[12:13], v16, off
	s_wait_xcnt 0x0
	v_add_nc_u64_e32 v[12:13], s[22:23], v[12:13]
	s_and_not1_b32 exec_lo, exec_lo, s35
	s_cbranch_execnz .LBB2_16
	s_branch .LBB2_5
.LBB2_17:
	s_endpgm
.LBB2_18:
                                        ; implicit-def: $sgpr10_sgpr11
	s_branch .LBB2_2
	.section	.rodata,"a",@progbits
	.p2align	6, 0x0
	.amdhsa_kernel _Z15resize_bilinearItLm8EEvPT_miiPKS0_iiffb
		.amdhsa_group_segment_fixed_size 0
		.amdhsa_private_segment_fixed_size 0
		.amdhsa_kernarg_size 312
		.amdhsa_user_sgpr_count 2
		.amdhsa_user_sgpr_dispatch_ptr 0
		.amdhsa_user_sgpr_queue_ptr 0
		.amdhsa_user_sgpr_kernarg_segment_ptr 1
		.amdhsa_user_sgpr_dispatch_id 0
		.amdhsa_user_sgpr_kernarg_preload_length 0
		.amdhsa_user_sgpr_kernarg_preload_offset 0
		.amdhsa_user_sgpr_private_segment_size 0
		.amdhsa_wavefront_size32 1
		.amdhsa_uses_dynamic_stack 0
		.amdhsa_enable_private_segment 0
		.amdhsa_system_sgpr_workgroup_id_x 1
		.amdhsa_system_sgpr_workgroup_id_y 0
		.amdhsa_system_sgpr_workgroup_id_z 0
		.amdhsa_system_sgpr_workgroup_info 0
		.amdhsa_system_vgpr_workitem_id 0
		.amdhsa_next_free_vgpr 25
		.amdhsa_next_free_sgpr 36
		.amdhsa_named_barrier_count 0
		.amdhsa_reserve_vcc 1
		.amdhsa_float_round_mode_32 0
		.amdhsa_float_round_mode_16_64 0
		.amdhsa_float_denorm_mode_32 3
		.amdhsa_float_denorm_mode_16_64 3
		.amdhsa_fp16_overflow 0
		.amdhsa_memory_ordered 1
		.amdhsa_forward_progress 1
		.amdhsa_inst_pref_size 15
		.amdhsa_round_robin_scheduling 0
		.amdhsa_exception_fp_ieee_invalid_op 0
		.amdhsa_exception_fp_denorm_src 0
		.amdhsa_exception_fp_ieee_div_zero 0
		.amdhsa_exception_fp_ieee_overflow 0
		.amdhsa_exception_fp_ieee_underflow 0
		.amdhsa_exception_fp_ieee_inexact 0
		.amdhsa_exception_int_div_zero 0
	.end_amdhsa_kernel
	.section	.text._Z15resize_bilinearItLm8EEvPT_miiPKS0_iiffb,"axG",@progbits,_Z15resize_bilinearItLm8EEvPT_miiPKS0_iiffb,comdat
.Lfunc_end2:
	.size	_Z15resize_bilinearItLm8EEvPT_miiPKS0_iiffb, .Lfunc_end2-_Z15resize_bilinearItLm8EEvPT_miiPKS0_iiffb
                                        ; -- End function
	.set _Z15resize_bilinearItLm8EEvPT_miiPKS0_iiffb.num_vgpr, 25
	.set _Z15resize_bilinearItLm8EEvPT_miiPKS0_iiffb.num_agpr, 0
	.set _Z15resize_bilinearItLm8EEvPT_miiPKS0_iiffb.numbered_sgpr, 36
	.set _Z15resize_bilinearItLm8EEvPT_miiPKS0_iiffb.num_named_barrier, 0
	.set _Z15resize_bilinearItLm8EEvPT_miiPKS0_iiffb.private_seg_size, 0
	.set _Z15resize_bilinearItLm8EEvPT_miiPKS0_iiffb.uses_vcc, 1
	.set _Z15resize_bilinearItLm8EEvPT_miiPKS0_iiffb.uses_flat_scratch, 0
	.set _Z15resize_bilinearItLm8EEvPT_miiPKS0_iiffb.has_dyn_sized_stack, 0
	.set _Z15resize_bilinearItLm8EEvPT_miiPKS0_iiffb.has_recursion, 0
	.set _Z15resize_bilinearItLm8EEvPT_miiPKS0_iiffb.has_indirect_call, 0
	.section	.AMDGPU.csdata,"",@progbits
; Kernel info:
; codeLenInByte = 1908
; TotalNumSgprs: 38
; NumVgprs: 25
; ScratchSize: 0
; MemoryBound: 0
; FloatMode: 240
; IeeeMode: 1
; LDSByteSize: 0 bytes/workgroup (compile time only)
; SGPRBlocks: 0
; VGPRBlocks: 1
; NumSGPRsForWavesPerEU: 38
; NumVGPRsForWavesPerEU: 25
; NamedBarCnt: 0
; Occupancy: 16
; WaveLimiterHint : 0
; COMPUTE_PGM_RSRC2:SCRATCH_EN: 0
; COMPUTE_PGM_RSRC2:USER_SGPR: 2
; COMPUTE_PGM_RSRC2:TRAP_HANDLER: 0
; COMPUTE_PGM_RSRC2:TGID_X_EN: 1
; COMPUTE_PGM_RSRC2:TGID_Y_EN: 0
; COMPUTE_PGM_RSRC2:TGID_Z_EN: 0
; COMPUTE_PGM_RSRC2:TIDIG_COMP_CNT: 0
	.section	.text._Z6resizeItLm8EEvPT_miiPKS0_iiffbb,"axG",@progbits,_Z6resizeItLm8EEvPT_miiPKS0_iiffbb,comdat
	.protected	_Z6resizeItLm8EEvPT_miiPKS0_iiffbb ; -- Begin function _Z6resizeItLm8EEvPT_miiPKS0_iiffbb
	.globl	_Z6resizeItLm8EEvPT_miiPKS0_iiffbb
	.p2align	8
	.type	_Z6resizeItLm8EEvPT_miiPKS0_iiffbb,@function
_Z6resizeItLm8EEvPT_miiPKS0_iiffbb:     ; @_Z6resizeItLm8EEvPT_miiPKS0_iiffbb
; %bb.0:
	s_load_b128 s[4:7], s[0:1], 0x8
	s_wait_kmcnt 0x0
	s_mul_i32 s2, s7, s6
	s_delay_alu instid0(SALU_CYCLE_1) | instskip(NEXT) | instid1(SALU_CYCLE_1)
	s_ashr_i32 s3, s2, 31
	s_or_b64 s[8:9], s[4:5], s[2:3]
	s_delay_alu instid0(SALU_CYCLE_1) | instskip(NEXT) | instid1(SALU_CYCLE_1)
	s_and_b64 s[8:9], s[8:9], 0xffffffff00000000
	s_cmp_lg_u64 s[8:9], 0
	s_cbranch_scc0 .LBB3_15
; %bb.1:
	s_cvt_f32_u32 s6, s2
	s_cvt_f32_u32 s8, s3
	s_sub_nc_u64 s[12:13], 0, s[2:3]
	s_mov_b32 s9, 0
	s_delay_alu instid0(SALU_CYCLE_1) | instskip(NEXT) | instid1(SALU_CYCLE_3)
	s_fmamk_f32 s6, s8, 0x4f800000, s6
	v_s_rcp_f32 s6, s6
	s_delay_alu instid0(TRANS32_DEP_1) | instskip(NEXT) | instid1(SALU_CYCLE_3)
	s_mul_f32 s6, s6, 0x5f7ffffc
	s_mul_f32 s8, s6, 0x2f800000
	s_delay_alu instid0(SALU_CYCLE_3) | instskip(NEXT) | instid1(SALU_CYCLE_3)
	s_trunc_f32 s8, s8
	s_fmamk_f32 s6, s8, 0xcf800000, s6
	s_cvt_u32_f32 s11, s8
	s_delay_alu instid0(SALU_CYCLE_2) | instskip(NEXT) | instid1(SALU_CYCLE_3)
	s_cvt_u32_f32 s10, s6
	s_mul_u64 s[14:15], s[12:13], s[10:11]
	s_delay_alu instid0(SALU_CYCLE_1)
	s_mul_hi_u32 s17, s10, s15
	s_mul_i32 s16, s10, s15
	s_mul_hi_u32 s8, s10, s14
	s_mul_i32 s18, s11, s14
	s_add_nc_u64 s[16:17], s[8:9], s[16:17]
	s_mul_hi_u32 s6, s11, s14
	s_mul_hi_u32 s19, s11, s15
	s_add_co_u32 s8, s16, s18
	s_add_co_ci_u32 s8, s17, s6
	s_mul_i32 s14, s11, s15
	s_add_co_ci_u32 s15, s19, 0
	s_delay_alu instid0(SALU_CYCLE_1) | instskip(NEXT) | instid1(SALU_CYCLE_1)
	s_add_nc_u64 s[14:15], s[8:9], s[14:15]
	s_add_co_u32 s10, s10, s14
	s_cselect_b32 s6, -1, 0
	s_delay_alu instid0(SALU_CYCLE_1) | instskip(SKIP_1) | instid1(SALU_CYCLE_1)
	s_cmp_lg_u32 s6, 0
	s_add_co_ci_u32 s11, s11, s15
	s_mul_u64 s[12:13], s[12:13], s[10:11]
	s_delay_alu instid0(SALU_CYCLE_1)
	s_mul_hi_u32 s15, s10, s13
	s_mul_i32 s14, s10, s13
	s_mul_hi_u32 s8, s10, s12
	s_mul_i32 s16, s11, s12
	s_add_nc_u64 s[14:15], s[8:9], s[14:15]
	s_mul_hi_u32 s6, s11, s12
	s_mul_hi_u32 s17, s11, s13
	s_add_co_u32 s8, s14, s16
	s_add_co_ci_u32 s8, s15, s6
	s_mul_i32 s12, s11, s13
	s_add_co_ci_u32 s13, s17, 0
	s_delay_alu instid0(SALU_CYCLE_1) | instskip(NEXT) | instid1(SALU_CYCLE_1)
	s_add_nc_u64 s[12:13], s[8:9], s[12:13]
	s_add_co_u32 s6, s10, s12
	s_cselect_b32 s10, -1, 0
	s_mul_hi_u32 s8, s4, s6
	s_cmp_lg_u32 s10, 0
	s_mul_hi_u32 s14, s5, s6
	s_add_co_ci_u32 s12, s11, s13
	s_mul_i32 s6, s5, s6
	s_mul_hi_u32 s11, s4, s12
	s_mul_i32 s10, s4, s12
	s_mul_hi_u32 s13, s5, s12
	s_add_nc_u64 s[10:11], s[8:9], s[10:11]
	s_mul_i32 s12, s5, s12
	s_add_co_u32 s6, s10, s6
	s_add_co_ci_u32 s8, s11, s14
	s_add_co_ci_u32 s13, s13, 0
	s_delay_alu instid0(SALU_CYCLE_1) | instskip(NEXT) | instid1(SALU_CYCLE_1)
	s_add_nc_u64 s[10:11], s[8:9], s[12:13]
	s_and_b64 s[12:13], s[10:11], 0xffffffff00000000
	s_delay_alu instid0(SALU_CYCLE_1) | instskip(NEXT) | instid1(SALU_CYCLE_1)
	s_or_b32 s12, s12, s10
	s_mul_u64 s[10:11], s[2:3], s[12:13]
	s_delay_alu instid0(SALU_CYCLE_1)
	s_sub_co_u32 s6, s4, s10
	s_cselect_b32 s8, -1, 0
	s_sub_co_i32 s10, s5, s11
	s_cmp_lg_u32 s8, 0
	s_sub_co_ci_u32 s10, s10, s3
	s_sub_co_u32 s14, s6, s2
	s_cselect_b32 s15, -1, 0
	s_delay_alu instid0(SALU_CYCLE_1) | instskip(SKIP_1) | instid1(SALU_CYCLE_1)
	s_cmp_lg_u32 s15, 0
	s_sub_co_ci_u32 s10, s10, 0
	s_cmp_ge_u32 s10, s3
	s_cselect_b32 s16, -1, 0
	s_cmp_ge_u32 s14, s2
	s_add_nc_u64 s[14:15], s[12:13], 1
	s_cselect_b32 s17, -1, 0
	s_cmp_eq_u32 s10, s3
	s_cselect_b32 s10, s17, s16
	s_add_nc_u64 s[16:17], s[12:13], 2
	s_cmp_lg_u32 s10, 0
	s_cselect_b32 s10, s16, s14
	s_cselect_b32 s14, s17, s15
	s_cmp_lg_u32 s8, 0
	s_sub_co_ci_u32 s5, s5, s11
	s_delay_alu instid0(SALU_CYCLE_1)
	s_cmp_ge_u32 s5, s3
	s_cselect_b32 s8, -1, 0
	s_cmp_ge_u32 s6, s2
	s_cselect_b32 s6, -1, 0
	s_cmp_eq_u32 s5, s3
	s_cselect_b32 s5, s6, s8
	s_delay_alu instid0(SALU_CYCLE_1)
	s_cmp_lg_u32 s5, 0
	s_cselect_b32 s11, s14, s13
	s_cselect_b32 s10, s10, s12
	s_cbranch_execnz .LBB3_3
.LBB3_2:
	v_cvt_f32_u32_e32 v1, s2
	s_sub_co_i32 s6, 0, s2
	s_mov_b32 s11, 0
	s_delay_alu instid0(VALU_DEP_1) | instskip(SKIP_1) | instid1(TRANS32_DEP_1)
	v_rcp_iflag_f32_e32 v1, v1
	v_nop
	v_mul_f32_e32 v1, 0x4f7ffffe, v1
	s_delay_alu instid0(VALU_DEP_1) | instskip(NEXT) | instid1(VALU_DEP_1)
	v_cvt_u32_f32_e32 v1, v1
	v_readfirstlane_b32 s5, v1
	s_mul_i32 s6, s6, s5
	s_delay_alu instid0(SALU_CYCLE_1) | instskip(NEXT) | instid1(SALU_CYCLE_1)
	s_mul_hi_u32 s6, s5, s6
	s_add_co_i32 s5, s5, s6
	s_delay_alu instid0(SALU_CYCLE_1) | instskip(NEXT) | instid1(SALU_CYCLE_1)
	s_mul_hi_u32 s5, s4, s5
	s_mul_i32 s6, s5, s2
	s_delay_alu instid0(SALU_CYCLE_1)
	s_sub_co_i32 s4, s4, s6
	s_add_co_i32 s6, s5, 1
	s_sub_co_i32 s8, s4, s2
	s_cmp_ge_u32 s4, s2
	s_cselect_b32 s5, s6, s5
	s_cselect_b32 s4, s8, s4
	s_add_co_i32 s6, s5, 1
	s_cmp_ge_u32 s4, s2
	s_cselect_b32 s10, s6, s5
.LBB3_3:
	s_load_b32 s6, s[0:1], 0x44
	s_bfe_u32 s8, ttmp6, 0x4000c
	s_and_b32 s9, ttmp6, 15
	s_add_co_i32 s8, s8, 1
	s_lshr_b64 s[4:5], s[10:11], 3
	s_mul_i32 s8, ttmp9, s8
	s_getreg_b32 s10, hwreg(HW_REG_IB_STS2, 6, 4)
	s_add_co_i32 s9, s9, s8
	s_mul_u64 s[4:5], s[4:5], s[2:3]
	s_mov_b32 s13, 0
	s_wait_kmcnt 0x0
	s_and_b32 s12, s6, 0xffff
	s_cmp_eq_u32 s10, 0
	s_cselect_b32 s6, ttmp9, s9
	v_nop
	v_mad_u32 v0, s6, s12, v0
	s_mov_b32 s6, exec_lo
	s_delay_alu instid0(VALU_DEP_1) | instskip(NEXT) | instid1(VALU_DEP_1)
	v_ashrrev_i32_e32 v1, 31, v0
	v_cmpx_gt_u64_e64 s[4:5], v[0:1]
	s_cbranch_execz .LBB3_14
; %bb.4:
	s_load_b32 s16, s[0:1], 0x30
	s_add_nc_u64 s[14:15], s[0:1], 56
	s_load_b128 s[8:11], s[0:1], 0x20
	s_load_b32 s27, s[14:15], 0x0
	v_mov_b32_e32 v3, 0
	s_mov_b32 s19, s13
	s_wait_kmcnt 0x0
	s_bitcmp1_b32 s16, 0
	s_mul_i32 s27, s27, s12
	s_cselect_b32 s6, -1, 0
	s_delay_alu instid0(SALU_CYCLE_1)
	s_xor_b32 s6, s6, -1
	s_bitcmp1_b32 s16, 8
	s_clause 0x1
	s_load_b64 s[14:15], s[0:1], 0x0
	s_load_b64 s[16:17], s[0:1], 0x18
	s_wait_xcnt 0x0
	s_cselect_b32 s0, -1, 0
	s_abs_i32 s1, s2
	s_abs_i32 s26, s7
	s_cvt_f32_u32 s18, s1
	s_cvt_f32_u32 s20, s26
	s_lshl_b64 s[22:23], s[2:3], 1
	s_sub_co_i32 s3, 0, s1
	v_rcp_iflag_f32_e32 v1, s18
	v_rcp_iflag_f32_e32 v2, s20
	s_mul_i32 s20, s9, s8
	s_sub_co_i32 s33, 0, s26
	s_ashr_i32 s21, s20, 31
	s_add_co_i32 s28, s9, -1
	s_lshl_b64 s[24:25], s[20:21], 1
	v_readfirstlane_b32 s12, v1
	v_readfirstlane_b32 s18, v2
	s_add_co_i32 s8, s8, -1
	s_ashr_i32 s29, s2, 31
	s_ashr_i32 s30, s7, 31
	s_mul_f32 s12, s12, 0x4f7ffffe
	s_mul_f32 s18, s18, 0x4f7ffffe
	s_sub_co_i32 s31, 0, s2
	s_delay_alu instid0(SALU_CYCLE_1) | instskip(NEXT) | instid1(SALU_CYCLE_1)
	s_cvt_u32_f32 s12, s12
	s_cvt_u32_f32 s18, s18
	s_delay_alu instid0(SALU_CYCLE_2) | instskip(NEXT) | instid1(SALU_CYCLE_2)
	s_mul_i32 s3, s3, s12
	s_mul_i32 s33, s33, s18
	s_mul_hi_u32 s3, s12, s3
	s_mul_hi_u32 s21, s18, s33
	s_add_co_i32 s12, s12, s3
	s_add_co_i32 s18, s18, s21
	s_mov_b32 s3, s13
	s_branch .LBB3_6
.LBB3_5:                                ;   in Loop: Header=BB3_6 Depth=1
	v_dual_lshlrev_b32 v18, 3, v4 :: v_dual_min_i32 v4, s8, v6
	s_delay_alu instid0(VALU_DEP_2) | instskip(SKIP_2) | instid1(VALU_DEP_4)
	v_min_i32_e32 v6, s28, v7
	v_mul_lo_u32 v1, v1, s7
	v_add_nc_u32_e32 v0, s27, v0
	v_mul_lo_u32 v5, v18, s20
	v_mul_lo_u32 v4, v4, s9
	s_delay_alu instid0(VALU_DEP_1) | instskip(NEXT) | instid1(VALU_DEP_1)
	v_add3_u32 v4, v4, v5, v6
	v_ashrrev_i32_e32 v5, 31, v4
	s_wait_kmcnt 0x0
	s_delay_alu instid0(VALU_DEP_1) | instskip(NEXT) | instid1(VALU_DEP_1)
	v_lshl_add_u64 v[6:7], v[4:5], 1, s[16:17]
	v_add_nc_u64_e32 v[6:7], s[24:25], v[6:7]
	s_clause 0x1
	global_load_u16 v19, v4, s[16:17] scale_offset
	global_load_u16 v20, v[6:7], off
	v_add_nc_u64_e32 v[8:9], s[24:25], v[6:7]
	s_delay_alu instid0(VALU_DEP_1) | instskip(NEXT) | instid1(VALU_DEP_1)
	v_add_nc_u64_e32 v[10:11], s[24:25], v[8:9]
	v_add_nc_u64_e32 v[12:13], s[24:25], v[10:11]
	s_delay_alu instid0(VALU_DEP_1) | instskip(NEXT) | instid1(VALU_DEP_1)
	v_add_nc_u64_e32 v[14:15], s[24:25], v[12:13]
	v_add_nc_u64_e32 v[16:17], s[24:25], v[14:15]
	s_wait_xcnt 0x1
	s_delay_alu instid0(VALU_DEP_1)
	v_add_nc_u64_e32 v[4:5], s[24:25], v[16:17]
	s_clause 0x5
	global_load_u16 v21, v[8:9], off
	global_load_u16 v22, v[10:11], off
	;; [unrolled: 1-line block ×6, first 2 shown]
	s_wait_xcnt 0x0
	v_mul_lo_u32 v4, v18, s2
	s_delay_alu instid0(VALU_DEP_1) | instskip(SKIP_1) | instid1(VALU_DEP_2)
	v_add3_u32 v4, v1, v4, v2
	v_ashrrev_i32_e32 v1, 31, v0
	v_ashrrev_i32_e32 v5, 31, v4
	s_delay_alu instid0(VALU_DEP_2) | instskip(NEXT) | instid1(VALU_DEP_2)
	v_cmp_le_u64_e32 vcc_lo, s[4:5], v[0:1]
	v_lshl_add_u64 v[6:7], v[4:5], 1, s[14:15]
	s_or_b32 s3, vcc_lo, s3
	s_delay_alu instid0(VALU_DEP_1) | instskip(NEXT) | instid1(VALU_DEP_1)
	v_add_nc_u64_e32 v[6:7], s[22:23], v[6:7]
	v_add_nc_u64_e32 v[8:9], s[22:23], v[6:7]
	s_delay_alu instid0(VALU_DEP_1) | instskip(NEXT) | instid1(VALU_DEP_1)
	v_add_nc_u64_e32 v[10:11], s[22:23], v[8:9]
	v_add_nc_u64_e32 v[12:13], s[22:23], v[10:11]
	;; [unrolled: 3-line block ×3, first 2 shown]
	s_wait_loadcnt 0x7
	global_store_b16 v4, v19, s[14:15] scale_offset
	s_wait_xcnt 0x0
	v_add_nc_u64_e32 v[4:5], s[22:23], v[16:17]
	s_wait_loadcnt 0x6
	global_store_b16 v[6:7], v20, off
	s_wait_loadcnt 0x5
	global_store_b16 v[8:9], v21, off
	;; [unrolled: 2-line block ×7, first 2 shown]
	s_wait_xcnt 0x0
	s_and_not1_b32 exec_lo, exec_lo, s3
	s_cbranch_execz .LBB3_14
.LBB3_6:                                ; =>This Inner Loop Header: Depth=1
	v_sub_nc_u32_e32 v1, 0, v0
	s_mov_b32 s21, -1
	s_delay_alu instid0(VALU_DEP_1) | instskip(NEXT) | instid1(VALU_DEP_1)
	v_max_i32_e32 v2, v0, v1
	v_mul_u64_e32 v[4:5], s[12:13], v[2:3]
	s_delay_alu instid0(VALU_DEP_1) | instskip(SKIP_1) | instid1(VALU_DEP_2)
	v_mul_lo_u32 v1, v5, s1
	v_add_nc_u32_e32 v4, 1, v5
	v_sub_nc_u32_e32 v1, v2, v1
	s_delay_alu instid0(VALU_DEP_1) | instskip(NEXT) | instid1(VALU_DEP_3)
	v_cmp_le_u32_e32 vcc_lo, s1, v1
	v_cndmask_b32_e32 v4, v5, v4, vcc_lo
	v_ashrrev_i32_e32 v5, 31, v0
	v_subrev_nc_u32_e32 v6, s1, v1
	s_delay_alu instid0(VALU_DEP_1) | instskip(NEXT) | instid1(VALU_DEP_1)
	v_dual_cndmask_b32 v1, v1, v6 :: v_dual_add_nc_u32 v6, 1, v4
	v_cmp_le_u32_e32 vcc_lo, s1, v1
	s_delay_alu instid0(VALU_DEP_2) | instskip(NEXT) | instid1(VALU_DEP_1)
	v_dual_cndmask_b32 v1, v4, v6, vcc_lo :: v_dual_bitop2_b32 v7, s29, v5 bitop3:0x14
	v_xor_b32_e32 v1, v1, v7
	s_delay_alu instid0(VALU_DEP_1) | instskip(NEXT) | instid1(VALU_DEP_1)
	v_dual_mov_b32 v7, v3 :: v_dual_sub_nc_u32 v4, v1, v7
	v_mad_u32 v1, s31, v4, v0
	s_delay_alu instid0(VALU_DEP_1) | instskip(SKIP_1) | instid1(VALU_DEP_1)
	v_ashrrev_i32_e32 v1, 31, v1
	v_mul_lo_u32 v6, v4, s2
	v_sub_nc_u32_e32 v6, v1, v6
	s_delay_alu instid0(VALU_DEP_1) | instskip(NEXT) | instid1(VALU_DEP_1)
	v_add_nc_u32_e32 v6, v0, v6
	v_xor_b32_e32 v6, v6, v1
	s_delay_alu instid0(VALU_DEP_1) | instskip(NEXT) | instid1(VALU_DEP_1)
	v_mul_u64_e32 v[8:9], s[18:19], v[6:7]
	v_mul_lo_u32 v7, v9, s26
	s_delay_alu instid0(VALU_DEP_1) | instskip(NEXT) | instid1(VALU_DEP_1)
	v_dual_sub_nc_u32 v6, v6, v7 :: v_dual_add_nc_u32 v7, 1, v9
	v_subrev_nc_u32_e32 v8, s26, v6
	v_cmp_le_u32_e32 vcc_lo, s26, v6
	s_delay_alu instid0(VALU_DEP_2) | instskip(NEXT) | instid1(VALU_DEP_1)
	v_dual_cndmask_b32 v7, v9, v7 :: v_dual_cndmask_b32 v6, v6, v8
	v_add_nc_u32_e32 v8, 1, v7
	s_delay_alu instid0(VALU_DEP_2) | instskip(NEXT) | instid1(VALU_DEP_2)
	v_cmp_le_u32_e32 vcc_lo, s26, v6
	v_dual_cndmask_b32 v6, v7, v8, vcc_lo :: v_dual_bitop2_b32 v1, s30, v1 bitop3:0x14
	s_and_b32 vcc_lo, exec_lo, s6
	s_delay_alu instid0(VALU_DEP_1) | instskip(NEXT) | instid1(VALU_DEP_1)
	v_xor_b32_e32 v6, v6, v1
	v_sub_nc_u32_e32 v1, v6, v1
	s_delay_alu instid0(VALU_DEP_1) | instskip(NEXT) | instid1(VALU_DEP_1)
	v_cvt_f32_i32_e32 v6, v1
	v_add_f32_e32 v7, 0.5, v6
	s_delay_alu instid0(VALU_DEP_1) | instskip(NEXT) | instid1(VALU_DEP_1)
	v_cndmask_b32_e64 v6, v6, v7, s0
	v_mul_f32_e32 v7, s10, v6
                                        ; implicit-def: $vgpr6
	s_cbranch_vccz .LBB3_8
; %bb.7:                                ;   in Loop: Header=BB3_6 Depth=1
	s_delay_alu instid0(VALU_DEP_1)
	v_cvt_i32_f32_e32 v6, v7
	s_mov_b32 s21, 0
.LBB3_8:                                ;   in Loop: Header=BB3_6 Depth=1
	s_delay_alu instid0(SALU_CYCLE_1)
	s_and_not1_b32 vcc_lo, exec_lo, s21
	s_cbranch_vccnz .LBB3_10
; %bb.9:                                ;   in Loop: Header=BB3_6 Depth=1
	s_delay_alu instid0(VALU_DEP_1) | instskip(NEXT) | instid1(VALU_DEP_1)
	v_trunc_f32_e32 v6, v7
	v_sub_f32_e32 v8, v7, v6
	s_delay_alu instid0(VALU_DEP_1) | instskip(NEXT) | instid1(VALU_DEP_1)
	v_cmp_ge_f32_e64 s21, |v8|, 0.5
	v_cndmask_b32_e64 v8, 0, 1.0, s21
	s_delay_alu instid0(VALU_DEP_1) | instskip(NEXT) | instid1(VALU_DEP_1)
	v_bfi_b32 v7, 0x7fffffff, v8, v7
	v_add_f32_e32 v6, v6, v7
	s_delay_alu instid0(VALU_DEP_1) | instskip(NEXT) | instid1(VALU_DEP_1)
	v_trunc_f32_e32 v6, v6
	v_mul_f32_e64 v7, 0x2f800000, |v6|
	s_delay_alu instid0(VALU_DEP_1) | instskip(NEXT) | instid1(VALU_DEP_1)
	v_floor_f32_e32 v7, v7
	v_fma_f32 v7, 0xcf800000, v7, |v6|
	v_ashrrev_i32_e32 v6, 31, v6
	s_delay_alu instid0(VALU_DEP_2) | instskip(NEXT) | instid1(VALU_DEP_1)
	v_cvt_u32_f32_e32 v7, v7
	v_xor_b32_e32 v7, v7, v6
	s_delay_alu instid0(VALU_DEP_1)
	v_sub_nc_u32_e32 v6, v7, v6
.LBB3_10:                               ;   in Loop: Header=BB3_6 Depth=1
	v_mul_u64_e32 v[8:9], s[18:19], v[2:3]
	s_mov_b32 s21, -1
	s_delay_alu instid0(VALU_DEP_1) | instskip(NEXT) | instid1(VALU_DEP_1)
	v_mul_lo_u32 v7, v9, s26
	v_sub_nc_u32_e32 v2, v2, v7
	s_delay_alu instid0(VALU_DEP_1) | instskip(SKIP_1) | instid1(VALU_DEP_2)
	v_subrev_nc_u32_e32 v7, s26, v2
	v_cmp_le_u32_e32 vcc_lo, s26, v2
	v_cndmask_b32_e32 v2, v2, v7, vcc_lo
	s_delay_alu instid0(VALU_DEP_1) | instskip(SKIP_1) | instid1(VALU_DEP_2)
	v_subrev_nc_u32_e32 v7, s26, v2
	v_cmp_le_u32_e32 vcc_lo, s26, v2
	v_cndmask_b32_e32 v2, v2, v7, vcc_lo
	s_and_b32 vcc_lo, exec_lo, s6
	s_delay_alu instid0(VALU_DEP_1) | instskip(NEXT) | instid1(VALU_DEP_1)
	v_xor_b32_e32 v2, v2, v5
	v_sub_nc_u32_e32 v2, v2, v5
	s_delay_alu instid0(VALU_DEP_1) | instskip(NEXT) | instid1(VALU_DEP_1)
	v_cvt_f32_i32_e32 v5, v2
	v_add_f32_e32 v7, 0.5, v5
	s_delay_alu instid0(VALU_DEP_1) | instskip(NEXT) | instid1(VALU_DEP_1)
	v_cndmask_b32_e64 v5, v5, v7, s0
                                        ; implicit-def: $vgpr7
	v_mul_f32_e32 v5, s11, v5
	s_cbranch_vccz .LBB3_12
; %bb.11:                               ;   in Loop: Header=BB3_6 Depth=1
	s_delay_alu instid0(VALU_DEP_1)
	v_cvt_i32_f32_e32 v7, v5
	s_mov_b32 s21, 0
.LBB3_12:                               ;   in Loop: Header=BB3_6 Depth=1
	s_delay_alu instid0(SALU_CYCLE_1)
	s_and_not1_b32 vcc_lo, exec_lo, s21
	s_cbranch_vccnz .LBB3_5
; %bb.13:                               ;   in Loop: Header=BB3_6 Depth=1
	s_delay_alu instid0(VALU_DEP_1) | instskip(NEXT) | instid1(VALU_DEP_1)
	v_trunc_f32_e32 v7, v5
	v_sub_f32_e32 v8, v5, v7
	s_delay_alu instid0(VALU_DEP_1) | instskip(NEXT) | instid1(VALU_DEP_1)
	v_cmp_ge_f32_e64 s21, |v8|, 0.5
	v_cndmask_b32_e64 v8, 0, 1.0, s21
	s_delay_alu instid0(VALU_DEP_1) | instskip(NEXT) | instid1(VALU_DEP_1)
	v_bfi_b32 v5, 0x7fffffff, v8, v5
	v_add_f32_e32 v5, v7, v5
	s_delay_alu instid0(VALU_DEP_1) | instskip(NEXT) | instid1(VALU_DEP_1)
	v_trunc_f32_e32 v5, v5
	v_mul_f32_e64 v7, 0x2f800000, |v5|
	s_delay_alu instid0(VALU_DEP_1) | instskip(NEXT) | instid1(VALU_DEP_1)
	v_floor_f32_e32 v7, v7
	v_fma_f32 v7, 0xcf800000, v7, |v5|
	v_ashrrev_i32_e32 v5, 31, v5
	s_delay_alu instid0(VALU_DEP_2) | instskip(NEXT) | instid1(VALU_DEP_1)
	v_cvt_u32_f32_e32 v7, v7
	v_xor_b32_e32 v7, v7, v5
	s_delay_alu instid0(VALU_DEP_1)
	v_sub_nc_u32_e32 v7, v7, v5
	s_branch .LBB3_5
.LBB3_14:
	s_endpgm
.LBB3_15:
                                        ; implicit-def: $sgpr10_sgpr11
	s_branch .LBB3_2
	.section	.rodata,"a",@progbits
	.p2align	6, 0x0
	.amdhsa_kernel _Z6resizeItLm8EEvPT_miiPKS0_iiffbb
		.amdhsa_group_segment_fixed_size 0
		.amdhsa_private_segment_fixed_size 0
		.amdhsa_kernarg_size 312
		.amdhsa_user_sgpr_count 2
		.amdhsa_user_sgpr_dispatch_ptr 0
		.amdhsa_user_sgpr_queue_ptr 0
		.amdhsa_user_sgpr_kernarg_segment_ptr 1
		.amdhsa_user_sgpr_dispatch_id 0
		.amdhsa_user_sgpr_kernarg_preload_length 0
		.amdhsa_user_sgpr_kernarg_preload_offset 0
		.amdhsa_user_sgpr_private_segment_size 0
		.amdhsa_wavefront_size32 1
		.amdhsa_uses_dynamic_stack 0
		.amdhsa_enable_private_segment 0
		.amdhsa_system_sgpr_workgroup_id_x 1
		.amdhsa_system_sgpr_workgroup_id_y 0
		.amdhsa_system_sgpr_workgroup_id_z 0
		.amdhsa_system_sgpr_workgroup_info 0
		.amdhsa_system_vgpr_workitem_id 0
		.amdhsa_next_free_vgpr 27
		.amdhsa_next_free_sgpr 34
		.amdhsa_named_barrier_count 0
		.amdhsa_reserve_vcc 1
		.amdhsa_float_round_mode_32 0
		.amdhsa_float_round_mode_16_64 0
		.amdhsa_float_denorm_mode_32 3
		.amdhsa_float_denorm_mode_16_64 3
		.amdhsa_fp16_overflow 0
		.amdhsa_memory_ordered 1
		.amdhsa_forward_progress 1
		.amdhsa_inst_pref_size 17
		.amdhsa_round_robin_scheduling 0
		.amdhsa_exception_fp_ieee_invalid_op 0
		.amdhsa_exception_fp_denorm_src 0
		.amdhsa_exception_fp_ieee_div_zero 0
		.amdhsa_exception_fp_ieee_overflow 0
		.amdhsa_exception_fp_ieee_underflow 0
		.amdhsa_exception_fp_ieee_inexact 0
		.amdhsa_exception_int_div_zero 0
	.end_amdhsa_kernel
	.section	.text._Z6resizeItLm8EEvPT_miiPKS0_iiffbb,"axG",@progbits,_Z6resizeItLm8EEvPT_miiPKS0_iiffbb,comdat
.Lfunc_end3:
	.size	_Z6resizeItLm8EEvPT_miiPKS0_iiffbb, .Lfunc_end3-_Z6resizeItLm8EEvPT_miiPKS0_iiffbb
                                        ; -- End function
	.set _Z6resizeItLm8EEvPT_miiPKS0_iiffbb.num_vgpr, 27
	.set _Z6resizeItLm8EEvPT_miiPKS0_iiffbb.num_agpr, 0
	.set _Z6resizeItLm8EEvPT_miiPKS0_iiffbb.numbered_sgpr, 34
	.set _Z6resizeItLm8EEvPT_miiPKS0_iiffbb.num_named_barrier, 0
	.set _Z6resizeItLm8EEvPT_miiPKS0_iiffbb.private_seg_size, 0
	.set _Z6resizeItLm8EEvPT_miiPKS0_iiffbb.uses_vcc, 1
	.set _Z6resizeItLm8EEvPT_miiPKS0_iiffbb.uses_flat_scratch, 0
	.set _Z6resizeItLm8EEvPT_miiPKS0_iiffbb.has_dyn_sized_stack, 0
	.set _Z6resizeItLm8EEvPT_miiPKS0_iiffbb.has_recursion, 0
	.set _Z6resizeItLm8EEvPT_miiPKS0_iiffbb.has_indirect_call, 0
	.section	.AMDGPU.csdata,"",@progbits
; Kernel info:
; codeLenInByte = 2092
; TotalNumSgprs: 36
; NumVgprs: 27
; ScratchSize: 0
; MemoryBound: 0
; FloatMode: 240
; IeeeMode: 1
; LDSByteSize: 0 bytes/workgroup (compile time only)
; SGPRBlocks: 0
; VGPRBlocks: 1
; NumSGPRsForWavesPerEU: 36
; NumVGPRsForWavesPerEU: 27
; NamedBarCnt: 0
; Occupancy: 16
; WaveLimiterHint : 0
; COMPUTE_PGM_RSRC2:SCRATCH_EN: 0
; COMPUTE_PGM_RSRC2:USER_SGPR: 2
; COMPUTE_PGM_RSRC2:TRAP_HANDLER: 0
; COMPUTE_PGM_RSRC2:TGID_X_EN: 1
; COMPUTE_PGM_RSRC2:TGID_Y_EN: 0
; COMPUTE_PGM_RSRC2:TGID_Z_EN: 0
; COMPUTE_PGM_RSRC2:TIDIG_COMP_CNT: 0
	.section	.text._Z15resize_bilinearIjLm8EEvPT_miiPKS0_iiffb,"axG",@progbits,_Z15resize_bilinearIjLm8EEvPT_miiPKS0_iiffb,comdat
	.protected	_Z15resize_bilinearIjLm8EEvPT_miiPKS0_iiffb ; -- Begin function _Z15resize_bilinearIjLm8EEvPT_miiPKS0_iiffb
	.globl	_Z15resize_bilinearIjLm8EEvPT_miiPKS0_iiffb
	.p2align	8
	.type	_Z15resize_bilinearIjLm8EEvPT_miiPKS0_iiffb,@function
_Z15resize_bilinearIjLm8EEvPT_miiPKS0_iiffb: ; @_Z15resize_bilinearIjLm8EEvPT_miiPKS0_iiffb
; %bb.0:
	s_load_b128 s[4:7], s[0:1], 0x8
	s_wait_kmcnt 0x0
	s_mul_i32 s2, s7, s6
	s_delay_alu instid0(SALU_CYCLE_1) | instskip(NEXT) | instid1(SALU_CYCLE_1)
	s_ashr_i32 s3, s2, 31
	s_or_b64 s[8:9], s[4:5], s[2:3]
	s_delay_alu instid0(SALU_CYCLE_1) | instskip(NEXT) | instid1(SALU_CYCLE_1)
	s_and_b64 s[8:9], s[8:9], 0xffffffff00000000
	s_cmp_lg_u64 s[8:9], 0
	s_cbranch_scc0 .LBB4_18
; %bb.1:
	s_cvt_f32_u32 s8, s2
	s_cvt_f32_u32 s9, s3
	s_sub_nc_u64 s[12:13], 0, s[2:3]
	s_delay_alu instid0(SALU_CYCLE_2) | instskip(NEXT) | instid1(SALU_CYCLE_3)
	s_fmamk_f32 s8, s9, 0x4f800000, s8
	v_s_rcp_f32 s8, s8
	s_delay_alu instid0(TRANS32_DEP_1) | instskip(NEXT) | instid1(SALU_CYCLE_3)
	s_mul_f32 s8, s8, 0x5f7ffffc
	s_mul_f32 s9, s8, 0x2f800000
	s_delay_alu instid0(SALU_CYCLE_3) | instskip(NEXT) | instid1(SALU_CYCLE_3)
	s_trunc_f32 s9, s9
	s_fmamk_f32 s8, s9, 0xcf800000, s8
	s_cvt_u32_f32 s11, s9
	s_mov_b32 s9, 0
	s_delay_alu instid0(SALU_CYCLE_1) | instskip(NEXT) | instid1(SALU_CYCLE_3)
	s_cvt_u32_f32 s10, s8
	s_mul_u64 s[14:15], s[12:13], s[10:11]
	s_delay_alu instid0(SALU_CYCLE_1)
	s_mul_hi_u32 s17, s10, s15
	s_mul_i32 s16, s10, s15
	s_mul_hi_u32 s8, s10, s14
	s_mul_i32 s19, s11, s14
	s_add_nc_u64 s[16:17], s[8:9], s[16:17]
	s_mul_hi_u32 s18, s11, s14
	s_mul_hi_u32 s20, s11, s15
	s_add_co_u32 s8, s16, s19
	s_add_co_ci_u32 s8, s17, s18
	s_mul_i32 s14, s11, s15
	s_add_co_ci_u32 s15, s20, 0
	s_delay_alu instid0(SALU_CYCLE_1) | instskip(NEXT) | instid1(SALU_CYCLE_1)
	s_add_nc_u64 s[14:15], s[8:9], s[14:15]
	s_add_co_u32 s10, s10, s14
	s_cselect_b32 s8, -1, 0
	s_delay_alu instid0(SALU_CYCLE_1) | instskip(SKIP_1) | instid1(SALU_CYCLE_1)
	s_cmp_lg_u32 s8, 0
	s_add_co_ci_u32 s11, s11, s15
	s_mul_u64 s[12:13], s[12:13], s[10:11]
	s_delay_alu instid0(SALU_CYCLE_1)
	s_mul_hi_u32 s15, s10, s13
	s_mul_i32 s14, s10, s13
	s_mul_hi_u32 s8, s10, s12
	s_mul_i32 s17, s11, s12
	s_add_nc_u64 s[14:15], s[8:9], s[14:15]
	s_mul_hi_u32 s16, s11, s12
	s_mul_hi_u32 s18, s11, s13
	s_add_co_u32 s8, s14, s17
	s_add_co_ci_u32 s8, s15, s16
	s_mul_i32 s12, s11, s13
	s_add_co_ci_u32 s13, s18, 0
	s_delay_alu instid0(SALU_CYCLE_1) | instskip(NEXT) | instid1(SALU_CYCLE_1)
	s_add_nc_u64 s[12:13], s[8:9], s[12:13]
	s_add_co_u32 s10, s10, s12
	s_cselect_b32 s12, -1, 0
	s_mul_hi_u32 s8, s4, s10
	s_cmp_lg_u32 s12, 0
	s_mul_hi_u32 s14, s5, s10
	s_add_co_ci_u32 s12, s11, s13
	s_mul_i32 s13, s5, s10
	s_mul_hi_u32 s11, s4, s12
	s_mul_i32 s10, s4, s12
	s_mul_hi_u32 s15, s5, s12
	s_add_nc_u64 s[10:11], s[8:9], s[10:11]
	s_mul_i32 s12, s5, s12
	s_add_co_u32 s8, s10, s13
	s_add_co_ci_u32 s8, s11, s14
	s_add_co_ci_u32 s13, s15, 0
	s_delay_alu instid0(SALU_CYCLE_1) | instskip(NEXT) | instid1(SALU_CYCLE_1)
	s_add_nc_u64 s[10:11], s[8:9], s[12:13]
	s_and_b64 s[12:13], s[10:11], 0xffffffff00000000
	s_delay_alu instid0(SALU_CYCLE_1) | instskip(NEXT) | instid1(SALU_CYCLE_1)
	s_or_b32 s12, s12, s10
	s_mul_u64 s[10:11], s[2:3], s[12:13]
	s_delay_alu instid0(SALU_CYCLE_1)
	s_sub_co_u32 s8, s4, s10
	s_cselect_b32 s10, -1, 0
	s_sub_co_i32 s14, s5, s11
	s_cmp_lg_u32 s10, 0
	s_sub_co_ci_u32 s14, s14, s3
	s_sub_co_u32 s15, s8, s2
	s_cselect_b32 s16, -1, 0
	s_delay_alu instid0(SALU_CYCLE_1) | instskip(SKIP_1) | instid1(SALU_CYCLE_1)
	s_cmp_lg_u32 s16, 0
	s_sub_co_ci_u32 s14, s14, 0
	s_cmp_ge_u32 s14, s3
	s_cselect_b32 s16, -1, 0
	s_cmp_ge_u32 s15, s2
	s_cselect_b32 s17, -1, 0
	s_cmp_eq_u32 s14, s3
	s_add_nc_u64 s[14:15], s[12:13], 1
	s_cselect_b32 s18, s17, s16
	s_add_nc_u64 s[16:17], s[12:13], 2
	s_cmp_lg_u32 s18, 0
	s_cselect_b32 s14, s16, s14
	s_cselect_b32 s15, s17, s15
	s_cmp_lg_u32 s10, 0
	s_sub_co_ci_u32 s5, s5, s11
	s_delay_alu instid0(SALU_CYCLE_1)
	s_cmp_ge_u32 s5, s3
	s_cselect_b32 s10, -1, 0
	s_cmp_ge_u32 s8, s2
	s_cselect_b32 s8, -1, 0
	s_cmp_eq_u32 s5, s3
	s_cselect_b32 s5, s8, s10
	s_delay_alu instid0(SALU_CYCLE_1)
	s_cmp_lg_u32 s5, 0
	s_cselect_b32 s11, s15, s13
	s_cselect_b32 s10, s14, s12
	s_cbranch_execnz .LBB4_3
.LBB4_2:
	v_cvt_f32_u32_e32 v1, s2
	s_sub_co_i32 s8, 0, s2
	s_mov_b32 s11, 0
	s_delay_alu instid0(VALU_DEP_1) | instskip(SKIP_1) | instid1(TRANS32_DEP_1)
	v_rcp_iflag_f32_e32 v1, v1
	v_nop
	v_mul_f32_e32 v1, 0x4f7ffffe, v1
	s_delay_alu instid0(VALU_DEP_1) | instskip(NEXT) | instid1(VALU_DEP_1)
	v_cvt_u32_f32_e32 v1, v1
	v_readfirstlane_b32 s5, v1
	s_mul_i32 s8, s8, s5
	s_delay_alu instid0(SALU_CYCLE_1) | instskip(NEXT) | instid1(SALU_CYCLE_1)
	s_mul_hi_u32 s8, s5, s8
	s_add_co_i32 s5, s5, s8
	s_delay_alu instid0(SALU_CYCLE_1) | instskip(NEXT) | instid1(SALU_CYCLE_1)
	s_mul_hi_u32 s5, s4, s5
	s_mul_i32 s8, s5, s2
	s_delay_alu instid0(SALU_CYCLE_1)
	s_sub_co_i32 s4, s4, s8
	s_add_co_i32 s8, s5, 1
	s_sub_co_i32 s9, s4, s2
	s_cmp_ge_u32 s4, s2
	s_cselect_b32 s5, s8, s5
	s_cselect_b32 s4, s9, s4
	s_add_co_i32 s8, s5, 1
	s_cmp_ge_u32 s4, s2
	s_cselect_b32 s10, s8, s5
.LBB4_3:
	s_load_b32 s8, s[0:1], 0x44
	s_bfe_u32 s9, ttmp6, 0x4000c
	s_lshr_b64 s[4:5], s[10:11], 3
	s_add_co_i32 s9, s9, 1
	s_and_b32 s10, ttmp6, 15
	s_mul_i32 s9, ttmp9, s9
	s_getreg_b32 s11, hwreg(HW_REG_IB_STS2, 6, 4)
	s_add_co_i32 s10, s10, s9
	s_mul_u64 s[4:5], s[4:5], s[2:3]
	s_mov_b32 s13, 0
	s_wait_kmcnt 0x0
	s_and_b32 s12, s8, 0xffff
	s_cmp_eq_u32 s11, 0
	s_cselect_b32 s8, ttmp9, s10
	v_nop
	v_mad_u32 v0, s8, s12, v0
	s_mov_b32 s8, exec_lo
	s_delay_alu instid0(VALU_DEP_1) | instskip(NEXT) | instid1(VALU_DEP_1)
	v_ashrrev_i32_e32 v1, 31, v0
	v_cmpx_gt_u64_e64 s[4:5], v[0:1]
	s_cbranch_execz .LBB4_17
; %bb.4:
	s_clause 0x1
	s_load_b32 s20, s[0:1], 0x30
	s_load_b128 s[8:11], s[0:1], 0x20
	s_add_nc_u64 s[18:19], s[0:1], 56
	s_load_b32 s30, s[18:19], 0x0
	s_clause 0x1
	s_load_b64 s[14:15], s[0:1], 0x0
	s_load_b64 s[16:17], s[0:1], 0x18
	v_mov_b32_e32 v3, 0
	s_wait_xcnt 0x0
	s_mov_b32 s1, s13
	s_wait_kmcnt 0x0
	s_bitcmp1_b32 s20, 0
	s_mul_i32 s18, s9, s8
	s_cselect_b32 s0, -1, 0
	s_abs_i32 s28, s2
	s_abs_i32 s29, s7
	s_cvt_f32_u32 s19, s28
	s_cvt_f32_u32 s20, s29
	s_mul_i32 s30, s30, s12
	s_lshl_b64 s[22:23], s[2:3], 2
	v_rcp_iflag_f32_e32 v1, s19
	v_rcp_iflag_f32_e32 v2, s20
	s_xor_b32 s3, s0, -1
	s_sub_co_i32 s26, 0, s28
	s_sub_co_i32 s27, 0, s29
	s_ashr_i32 s19, s18, 31
	s_add_co_i32 s20, s9, -1
	v_readfirstlane_b32 s12, v1
	v_readfirstlane_b32 s21, v2
	s_lshl_b64 s[24:25], s[18:19], 2
	s_add_co_i32 s8, s8, -1
	s_ashr_i32 s31, s2, 31
	s_mul_f32 s0, s12, 0x4f7ffffe
	s_mul_f32 s12, s21, 0x4f7ffffe
	s_ashr_i32 s33, s7, 31
	s_ashr_i32 s21, s20, 31
	s_cvt_u32_f32 s0, s0
	s_cvt_u32_f32 s34, s12
	s_delay_alu instid0(SALU_CYCLE_2) | instskip(NEXT) | instid1(SALU_CYCLE_2)
	s_mul_i32 s26, s26, s0
	s_mul_i32 s27, s27, s34
	s_mul_hi_u32 s12, s0, s26
	s_mul_hi_u32 s19, s34, s27
	s_add_co_i32 s12, s0, s12
	s_add_co_i32 s0, s34, s19
	s_mov_b32 s19, s13
	s_branch .LBB4_6
.LBB4_5:                                ;   in Loop: Header=BB4_6 Depth=1
	s_or_b32 exec_lo, exec_lo, s34
	v_add_nc_u32_e32 v0, s30, v0
	s_delay_alu instid0(VALU_DEP_1) | instskip(NEXT) | instid1(VALU_DEP_1)
	v_ashrrev_i32_e32 v1, 31, v0
	v_cmp_le_u64_e32 vcc_lo, s[4:5], v[0:1]
	s_or_b32 s19, vcc_lo, s19
	s_delay_alu instid0(SALU_CYCLE_1)
	s_and_not1_b32 exec_lo, exec_lo, s19
	s_cbranch_execz .LBB4_17
.LBB4_6:                                ; =>This Loop Header: Depth=1
                                        ;     Child Loop BB4_16 Depth 2
	v_sub_nc_u32_e32 v1, 0, v0
	s_mov_b32 s26, -1
	s_delay_alu instid0(VALU_DEP_1) | instskip(NEXT) | instid1(VALU_DEP_1)
	v_max_i32_e32 v2, v0, v1
	v_mul_u64_e32 v[4:5], s[0:1], v[2:3]
	s_delay_alu instid0(VALU_DEP_1) | instskip(NEXT) | instid1(VALU_DEP_1)
	v_mul_lo_u32 v1, v5, s29
	v_sub_nc_u32_e32 v1, v2, v1
	s_delay_alu instid0(VALU_DEP_1) | instskip(SKIP_1) | instid1(VALU_DEP_2)
	v_subrev_nc_u32_e32 v4, s29, v1
	v_cmp_le_u32_e32 vcc_lo, s29, v1
	v_cndmask_b32_e32 v4, v1, v4, vcc_lo
	v_ashrrev_i32_e32 v1, 31, v0
	s_delay_alu instid0(VALU_DEP_2) | instskip(SKIP_1) | instid1(VALU_DEP_2)
	v_subrev_nc_u32_e32 v5, s29, v4
	v_cmp_le_u32_e32 vcc_lo, s29, v4
	v_cndmask_b32_e32 v4, v4, v5, vcc_lo
	s_and_b32 vcc_lo, exec_lo, s3
	s_delay_alu instid0(VALU_DEP_1) | instskip(NEXT) | instid1(VALU_DEP_1)
	v_xor_b32_e32 v6, v4, v1
	v_sub_nc_u32_e32 v4, v6, v1
	s_delay_alu instid0(VALU_DEP_1)
	v_cvt_f32_i32_e32 v5, v4
                                        ; implicit-def: $vgpr4
	s_cbranch_vccz .LBB4_8
; %bb.7:                                ;   in Loop: Header=BB4_6 Depth=1
	s_delay_alu instid0(VALU_DEP_1)
	v_mul_f32_e32 v4, s11, v5
	s_mov_b32 s26, 0
.LBB4_8:                                ;   in Loop: Header=BB4_6 Depth=1
	s_delay_alu instid0(SALU_CYCLE_1)
	s_and_not1_b32 vcc_lo, exec_lo, s26
	s_cbranch_vccnz .LBB4_10
; %bb.9:                                ;   in Loop: Header=BB4_6 Depth=1
	s_delay_alu instid0(VALU_DEP_1) | instskip(NEXT) | instid1(VALU_DEP_1)
	v_add_f32_e32 v4, 0.5, v5
	v_fma_f32 v4, s11, v4, -0.5
	s_delay_alu instid0(VALU_DEP_1)
	v_max_num_f32_e32 v4, 0, v4
.LBB4_10:                               ;   in Loop: Header=BB4_6 Depth=1
	v_mul_u64_e32 v[8:9], s[12:13], v[2:3]
	s_mov_b32 s26, -1
	s_delay_alu instid0(VALU_DEP_1) | instskip(NEXT) | instid1(VALU_DEP_1)
	v_mul_lo_u32 v5, v9, s28
	v_sub_nc_u32_e32 v2, v2, v5
	s_delay_alu instid0(VALU_DEP_1) | instskip(SKIP_1) | instid1(VALU_DEP_1)
	v_cmp_le_u32_e32 vcc_lo, s28, v2
	v_add_nc_u32_e32 v5, 1, v9
	v_cndmask_b32_e32 v5, v9, v5, vcc_lo
	v_subrev_nc_u32_e32 v7, s28, v2
	s_delay_alu instid0(VALU_DEP_1) | instskip(NEXT) | instid1(VALU_DEP_1)
	v_cndmask_b32_e32 v2, v2, v7, vcc_lo
	v_cmp_le_u32_e32 vcc_lo, s28, v2
	v_xor_b32_e32 v8, s31, v1
	v_add_nc_u32_e32 v7, 1, v5
	s_delay_alu instid0(VALU_DEP_1) | instskip(NEXT) | instid1(VALU_DEP_1)
	v_cndmask_b32_e32 v2, v5, v7, vcc_lo
	v_xor_b32_e32 v2, v2, v8
	s_delay_alu instid0(VALU_DEP_1) | instskip(NEXT) | instid1(VALU_DEP_1)
	v_sub_nc_u32_e32 v8, v2, v8
	v_mul_lo_u32 v2, v8, s2
	s_delay_alu instid0(VALU_DEP_1) | instskip(NEXT) | instid1(VALU_DEP_1)
	v_sub_nc_u32_e32 v5, v0, v2
	v_sub_nc_u32_e32 v2, 0, v5
	s_delay_alu instid0(VALU_DEP_1) | instskip(NEXT) | instid1(VALU_DEP_1)
	v_dual_ashrrev_i32 v5, 31, v5 :: v_dual_max_i32 v2, v5, v2
	v_mul_u64_e32 v[10:11], s[0:1], v[2:3]
	s_delay_alu instid0(VALU_DEP_1) | instskip(NEXT) | instid1(VALU_DEP_1)
	v_mul_lo_u32 v7, v11, s29
	v_sub_nc_u32_e32 v2, v2, v7
	v_add_nc_u32_e32 v7, 1, v11
	s_delay_alu instid0(VALU_DEP_2) | instskip(SKIP_1) | instid1(VALU_DEP_2)
	v_subrev_nc_u32_e32 v9, s29, v2
	v_cmp_le_u32_e32 vcc_lo, s29, v2
	v_dual_cndmask_b32 v7, v11, v7, vcc_lo :: v_dual_cndmask_b32 v9, v2, v9, vcc_lo
	s_delay_alu instid0(VALU_DEP_1) | instskip(NEXT) | instid1(VALU_DEP_2)
	v_add_nc_u32_e32 v10, 1, v7
	v_cmp_le_u32_e32 vcc_lo, s29, v9
	s_delay_alu instid0(VALU_DEP_2) | instskip(SKIP_1) | instid1(VALU_DEP_1)
	v_dual_cndmask_b32 v5, v7, v10, vcc_lo :: v_dual_bitop2_b32 v2, s33, v5 bitop3:0x14
	s_and_b32 vcc_lo, exec_lo, s3
	v_xor_b32_e32 v7, v5, v2
	s_delay_alu instid0(VALU_DEP_1) | instskip(NEXT) | instid1(VALU_DEP_1)
	v_sub_nc_u32_e32 v5, v7, v2
	v_cvt_f32_i32_e32 v9, v5
	s_cbranch_vccz .LBB4_12
; %bb.11:                               ;   in Loop: Header=BB4_6 Depth=1
	s_delay_alu instid0(VALU_DEP_1)
	v_mul_f32_e32 v5, s10, v9
	s_mov_b32 s26, 0
.LBB4_12:                               ;   in Loop: Header=BB4_6 Depth=1
	s_delay_alu instid0(SALU_CYCLE_1)
	s_and_not1_b32 vcc_lo, exec_lo, s26
	s_cbranch_vccnz .LBB4_14
; %bb.13:                               ;   in Loop: Header=BB4_6 Depth=1
	s_delay_alu instid0(VALU_DEP_1) | instskip(NEXT) | instid1(VALU_DEP_1)
	v_add_f32_e32 v5, 0.5, v9
	v_fma_f32 v5, s10, v5, -0.5
	s_delay_alu instid0(VALU_DEP_1)
	v_max_num_f32_e32 v5, 0, v5
.LBB4_14:                               ;   in Loop: Header=BB4_6 Depth=1
	v_lshlrev_b32_e32 v14, 3, v8
	s_mov_b32 s34, exec_lo
	s_delay_alu instid0(VALU_DEP_1)
	v_cmpx_ne_u32_e32 0x7ffffff8, v14
	s_cbranch_execz .LBB4_5
; %bb.15:                               ;   in Loop: Header=BB4_6 Depth=1
	v_cvt_i32_f32_e32 v8, v4
	v_mul_lo_u32 v9, v14, s18
	v_cvt_i32_f32_e32 v13, v5
	v_mad_u32 v7, s6, v14, v7
	s_mov_b64 s[26:27], 0
	v_add_nc_u32_e32 v10, 1, v8
	s_mov_b32 s35, 0
	v_min_i32_e32 v12, s8, v13
	v_add_min_i32_e64 v15, v13, 1, s8
	s_delay_alu instid0(VALU_DEP_3) | instskip(NEXT) | instid1(VALU_DEP_3)
	v_ashrrev_i32_e32 v11, 31, v10
	v_mad_u32 v12, v12, s9, v9
	s_delay_alu instid0(VALU_DEP_3) | instskip(SKIP_1) | instid1(VALU_DEP_4)
	v_mad_u32 v16, v15, s9, v9
	v_ashrrev_i32_e32 v9, 31, v8
	v_min_i64 v[10:11], s[20:21], v[10:11]
	v_sub_nc_u32_e32 v2, v7, v2
	v_cvt_f32_i32_e32 v7, v13
	v_dual_add_nc_u32 v15, 8, v14 :: v_dual_ashrrev_i32 v13, 31, v12
	s_delay_alu instid0(VALU_DEP_3) | instskip(SKIP_2) | instid1(VALU_DEP_2)
	v_mad_u32 v2, s7, v2, v6
	v_cvt_f32_i32_e32 v6, v8
	v_ashrrev_i32_e32 v17, 31, v16
	v_pk_add_f32 v[4:5], v[4:5], v[6:7] neg_lo:[0,1] neg_hi:[0,1]
	v_add_nc_u64_e32 v[6:7], v[8:9], v[12:13]
	s_delay_alu instid0(VALU_DEP_3) | instskip(SKIP_1) | instid1(VALU_DEP_4)
	v_add_nc_u64_e32 v[8:9], v[8:9], v[16:17]
	v_sub_nc_u32_e32 v18, v2, v1
	v_cvt_u32_f32_e32 v1, v5
	v_cvt_u32_f32_e32 v2, v4
	v_lshl_add_u64 v[4:5], v[6:7], 2, s[16:17]
	v_lshl_add_u64 v[6:7], v[8:9], 2, s[16:17]
	v_ashrrev_i32_e32 v19, 31, v18
	v_add_nc_u64_e32 v[12:13], v[10:11], v[12:13]
	v_add_nc_u64_e32 v[10:11], v[10:11], v[16:17]
	s_delay_alu instid0(VALU_DEP_2) | instskip(NEXT) | instid1(VALU_DEP_2)
	v_lshl_add_u64 v[8:9], v[12:13], 2, s[16:17]
	v_lshl_add_u64 v[10:11], v[10:11], 2, s[16:17]
	;; [unrolled: 1-line block ×3, first 2 shown]
.LBB4_16:                               ;   Parent Loop BB4_6 Depth=1
                                        ; =>  This Inner Loop Header: Depth=2
	s_delay_alu instid0(VALU_DEP_3)
	v_add_nc_u64_e32 v[16:17], s[26:27], v[8:9]
	v_add_nc_u64_e32 v[18:19], s[26:27], v[6:7]
	;; [unrolled: 1-line block ×3, first 2 shown]
	s_clause 0x2
	global_load_b32 v22, v[16:17], off
	global_load_b32 v23, v[18:19], off
	;; [unrolled: 1-line block ×3, first 2 shown]
	s_wait_xcnt 0x2
	v_add_nc_u64_e32 v[16:17], s[26:27], v[10:11]
	s_add_nc_u64 s[26:27], s[26:27], s[24:25]
	v_add_nc_u32_e32 v14, 1, v14
	global_load_b32 v16, v[16:17], off
	v_cmp_ge_i32_e32 vcc_lo, v14, v15
	s_or_b32 s35, vcc_lo, s35
	s_wait_loadcnt 0x1
	s_wait_xcnt 0x0
	v_dual_add_nc_u32 v17, v22, v23 :: v_dual_sub_nc_u32 v18, v23, v24
	s_delay_alu instid0(VALU_DEP_1) | instskip(SKIP_1) | instid1(VALU_DEP_1)
	v_dual_sub_nc_u32 v19, v22, v24 :: v_dual_sub_nc_u32 v17, v24, v17
	s_wait_loadcnt 0x0
	v_add_nc_u32_e32 v16, v17, v16
	s_delay_alu instid0(VALU_DEP_2) | instskip(NEXT) | instid1(VALU_DEP_2)
	v_mad_u32 v17, v19, v2, v24
	v_mad_u32 v16, v16, v2, v18
	s_delay_alu instid0(VALU_DEP_1)
	v_mad_u32 v16, v16, v1, v17
	global_store_b32 v[12:13], v16, off
	s_wait_xcnt 0x0
	v_add_nc_u64_e32 v[12:13], s[22:23], v[12:13]
	s_and_not1_b32 exec_lo, exec_lo, s35
	s_cbranch_execnz .LBB4_16
	s_branch .LBB4_5
.LBB4_17:
	s_endpgm
.LBB4_18:
                                        ; implicit-def: $sgpr10_sgpr11
	s_branch .LBB4_2
	.section	.rodata,"a",@progbits
	.p2align	6, 0x0
	.amdhsa_kernel _Z15resize_bilinearIjLm8EEvPT_miiPKS0_iiffb
		.amdhsa_group_segment_fixed_size 0
		.amdhsa_private_segment_fixed_size 0
		.amdhsa_kernarg_size 312
		.amdhsa_user_sgpr_count 2
		.amdhsa_user_sgpr_dispatch_ptr 0
		.amdhsa_user_sgpr_queue_ptr 0
		.amdhsa_user_sgpr_kernarg_segment_ptr 1
		.amdhsa_user_sgpr_dispatch_id 0
		.amdhsa_user_sgpr_kernarg_preload_length 0
		.amdhsa_user_sgpr_kernarg_preload_offset 0
		.amdhsa_user_sgpr_private_segment_size 0
		.amdhsa_wavefront_size32 1
		.amdhsa_uses_dynamic_stack 0
		.amdhsa_enable_private_segment 0
		.amdhsa_system_sgpr_workgroup_id_x 1
		.amdhsa_system_sgpr_workgroup_id_y 0
		.amdhsa_system_sgpr_workgroup_id_z 0
		.amdhsa_system_sgpr_workgroup_info 0
		.amdhsa_system_vgpr_workitem_id 0
		.amdhsa_next_free_vgpr 25
		.amdhsa_next_free_sgpr 36
		.amdhsa_named_barrier_count 0
		.amdhsa_reserve_vcc 1
		.amdhsa_float_round_mode_32 0
		.amdhsa_float_round_mode_16_64 0
		.amdhsa_float_denorm_mode_32 3
		.amdhsa_float_denorm_mode_16_64 3
		.amdhsa_fp16_overflow 0
		.amdhsa_memory_ordered 1
		.amdhsa_forward_progress 1
		.amdhsa_inst_pref_size 15
		.amdhsa_round_robin_scheduling 0
		.amdhsa_exception_fp_ieee_invalid_op 0
		.amdhsa_exception_fp_denorm_src 0
		.amdhsa_exception_fp_ieee_div_zero 0
		.amdhsa_exception_fp_ieee_overflow 0
		.amdhsa_exception_fp_ieee_underflow 0
		.amdhsa_exception_fp_ieee_inexact 0
		.amdhsa_exception_int_div_zero 0
	.end_amdhsa_kernel
	.section	.text._Z15resize_bilinearIjLm8EEvPT_miiPKS0_iiffb,"axG",@progbits,_Z15resize_bilinearIjLm8EEvPT_miiPKS0_iiffb,comdat
.Lfunc_end4:
	.size	_Z15resize_bilinearIjLm8EEvPT_miiPKS0_iiffb, .Lfunc_end4-_Z15resize_bilinearIjLm8EEvPT_miiPKS0_iiffb
                                        ; -- End function
	.set _Z15resize_bilinearIjLm8EEvPT_miiPKS0_iiffb.num_vgpr, 25
	.set _Z15resize_bilinearIjLm8EEvPT_miiPKS0_iiffb.num_agpr, 0
	.set _Z15resize_bilinearIjLm8EEvPT_miiPKS0_iiffb.numbered_sgpr, 36
	.set _Z15resize_bilinearIjLm8EEvPT_miiPKS0_iiffb.num_named_barrier, 0
	.set _Z15resize_bilinearIjLm8EEvPT_miiPKS0_iiffb.private_seg_size, 0
	.set _Z15resize_bilinearIjLm8EEvPT_miiPKS0_iiffb.uses_vcc, 1
	.set _Z15resize_bilinearIjLm8EEvPT_miiPKS0_iiffb.uses_flat_scratch, 0
	.set _Z15resize_bilinearIjLm8EEvPT_miiPKS0_iiffb.has_dyn_sized_stack, 0
	.set _Z15resize_bilinearIjLm8EEvPT_miiPKS0_iiffb.has_recursion, 0
	.set _Z15resize_bilinearIjLm8EEvPT_miiPKS0_iiffb.has_indirect_call, 0
	.section	.AMDGPU.csdata,"",@progbits
; Kernel info:
; codeLenInByte = 1848
; TotalNumSgprs: 38
; NumVgprs: 25
; ScratchSize: 0
; MemoryBound: 0
; FloatMode: 240
; IeeeMode: 1
; LDSByteSize: 0 bytes/workgroup (compile time only)
; SGPRBlocks: 0
; VGPRBlocks: 1
; NumSGPRsForWavesPerEU: 38
; NumVGPRsForWavesPerEU: 25
; NamedBarCnt: 0
; Occupancy: 16
; WaveLimiterHint : 0
; COMPUTE_PGM_RSRC2:SCRATCH_EN: 0
; COMPUTE_PGM_RSRC2:USER_SGPR: 2
; COMPUTE_PGM_RSRC2:TRAP_HANDLER: 0
; COMPUTE_PGM_RSRC2:TGID_X_EN: 1
; COMPUTE_PGM_RSRC2:TGID_Y_EN: 0
; COMPUTE_PGM_RSRC2:TGID_Z_EN: 0
; COMPUTE_PGM_RSRC2:TIDIG_COMP_CNT: 0
	.section	.text._Z6resizeIjLm8EEvPT_miiPKS0_iiffbb,"axG",@progbits,_Z6resizeIjLm8EEvPT_miiPKS0_iiffbb,comdat
	.protected	_Z6resizeIjLm8EEvPT_miiPKS0_iiffbb ; -- Begin function _Z6resizeIjLm8EEvPT_miiPKS0_iiffbb
	.globl	_Z6resizeIjLm8EEvPT_miiPKS0_iiffbb
	.p2align	8
	.type	_Z6resizeIjLm8EEvPT_miiPKS0_iiffbb,@function
_Z6resizeIjLm8EEvPT_miiPKS0_iiffbb:     ; @_Z6resizeIjLm8EEvPT_miiPKS0_iiffbb
; %bb.0:
	s_load_b128 s[4:7], s[0:1], 0x8
	s_wait_kmcnt 0x0
	s_mul_i32 s2, s7, s6
	s_delay_alu instid0(SALU_CYCLE_1) | instskip(NEXT) | instid1(SALU_CYCLE_1)
	s_ashr_i32 s3, s2, 31
	s_or_b64 s[8:9], s[4:5], s[2:3]
	s_delay_alu instid0(SALU_CYCLE_1) | instskip(NEXT) | instid1(SALU_CYCLE_1)
	s_and_b64 s[8:9], s[8:9], 0xffffffff00000000
	s_cmp_lg_u64 s[8:9], 0
	s_cbranch_scc0 .LBB5_15
; %bb.1:
	s_cvt_f32_u32 s6, s2
	s_cvt_f32_u32 s8, s3
	s_sub_nc_u64 s[12:13], 0, s[2:3]
	s_mov_b32 s9, 0
	s_delay_alu instid0(SALU_CYCLE_1) | instskip(NEXT) | instid1(SALU_CYCLE_3)
	s_fmamk_f32 s6, s8, 0x4f800000, s6
	v_s_rcp_f32 s6, s6
	s_delay_alu instid0(TRANS32_DEP_1) | instskip(NEXT) | instid1(SALU_CYCLE_3)
	s_mul_f32 s6, s6, 0x5f7ffffc
	s_mul_f32 s8, s6, 0x2f800000
	s_delay_alu instid0(SALU_CYCLE_3) | instskip(NEXT) | instid1(SALU_CYCLE_3)
	s_trunc_f32 s8, s8
	s_fmamk_f32 s6, s8, 0xcf800000, s6
	s_cvt_u32_f32 s11, s8
	s_delay_alu instid0(SALU_CYCLE_2) | instskip(NEXT) | instid1(SALU_CYCLE_3)
	s_cvt_u32_f32 s10, s6
	s_mul_u64 s[14:15], s[12:13], s[10:11]
	s_delay_alu instid0(SALU_CYCLE_1)
	s_mul_hi_u32 s17, s10, s15
	s_mul_i32 s16, s10, s15
	s_mul_hi_u32 s8, s10, s14
	s_mul_i32 s18, s11, s14
	s_add_nc_u64 s[16:17], s[8:9], s[16:17]
	s_mul_hi_u32 s6, s11, s14
	s_mul_hi_u32 s19, s11, s15
	s_add_co_u32 s8, s16, s18
	s_add_co_ci_u32 s8, s17, s6
	s_mul_i32 s14, s11, s15
	s_add_co_ci_u32 s15, s19, 0
	s_delay_alu instid0(SALU_CYCLE_1) | instskip(NEXT) | instid1(SALU_CYCLE_1)
	s_add_nc_u64 s[14:15], s[8:9], s[14:15]
	s_add_co_u32 s10, s10, s14
	s_cselect_b32 s6, -1, 0
	s_delay_alu instid0(SALU_CYCLE_1) | instskip(SKIP_1) | instid1(SALU_CYCLE_1)
	s_cmp_lg_u32 s6, 0
	s_add_co_ci_u32 s11, s11, s15
	s_mul_u64 s[12:13], s[12:13], s[10:11]
	s_delay_alu instid0(SALU_CYCLE_1)
	s_mul_hi_u32 s15, s10, s13
	s_mul_i32 s14, s10, s13
	s_mul_hi_u32 s8, s10, s12
	s_mul_i32 s16, s11, s12
	s_add_nc_u64 s[14:15], s[8:9], s[14:15]
	s_mul_hi_u32 s6, s11, s12
	s_mul_hi_u32 s17, s11, s13
	s_add_co_u32 s8, s14, s16
	s_add_co_ci_u32 s8, s15, s6
	s_mul_i32 s12, s11, s13
	s_add_co_ci_u32 s13, s17, 0
	s_delay_alu instid0(SALU_CYCLE_1) | instskip(NEXT) | instid1(SALU_CYCLE_1)
	s_add_nc_u64 s[12:13], s[8:9], s[12:13]
	s_add_co_u32 s6, s10, s12
	s_cselect_b32 s10, -1, 0
	s_mul_hi_u32 s8, s4, s6
	s_cmp_lg_u32 s10, 0
	s_mul_hi_u32 s14, s5, s6
	s_add_co_ci_u32 s12, s11, s13
	s_mul_i32 s6, s5, s6
	s_mul_hi_u32 s11, s4, s12
	s_mul_i32 s10, s4, s12
	s_mul_hi_u32 s13, s5, s12
	s_add_nc_u64 s[10:11], s[8:9], s[10:11]
	s_mul_i32 s12, s5, s12
	s_add_co_u32 s6, s10, s6
	s_add_co_ci_u32 s8, s11, s14
	s_add_co_ci_u32 s13, s13, 0
	s_delay_alu instid0(SALU_CYCLE_1) | instskip(NEXT) | instid1(SALU_CYCLE_1)
	s_add_nc_u64 s[10:11], s[8:9], s[12:13]
	s_and_b64 s[12:13], s[10:11], 0xffffffff00000000
	s_delay_alu instid0(SALU_CYCLE_1) | instskip(NEXT) | instid1(SALU_CYCLE_1)
	s_or_b32 s12, s12, s10
	s_mul_u64 s[10:11], s[2:3], s[12:13]
	s_delay_alu instid0(SALU_CYCLE_1)
	s_sub_co_u32 s6, s4, s10
	s_cselect_b32 s8, -1, 0
	s_sub_co_i32 s10, s5, s11
	s_cmp_lg_u32 s8, 0
	s_sub_co_ci_u32 s10, s10, s3
	s_sub_co_u32 s14, s6, s2
	s_cselect_b32 s15, -1, 0
	s_delay_alu instid0(SALU_CYCLE_1) | instskip(SKIP_1) | instid1(SALU_CYCLE_1)
	s_cmp_lg_u32 s15, 0
	s_sub_co_ci_u32 s10, s10, 0
	s_cmp_ge_u32 s10, s3
	s_cselect_b32 s16, -1, 0
	s_cmp_ge_u32 s14, s2
	s_add_nc_u64 s[14:15], s[12:13], 1
	s_cselect_b32 s17, -1, 0
	s_cmp_eq_u32 s10, s3
	s_cselect_b32 s10, s17, s16
	s_add_nc_u64 s[16:17], s[12:13], 2
	s_cmp_lg_u32 s10, 0
	s_cselect_b32 s10, s16, s14
	s_cselect_b32 s14, s17, s15
	s_cmp_lg_u32 s8, 0
	s_sub_co_ci_u32 s5, s5, s11
	s_delay_alu instid0(SALU_CYCLE_1)
	s_cmp_ge_u32 s5, s3
	s_cselect_b32 s8, -1, 0
	s_cmp_ge_u32 s6, s2
	s_cselect_b32 s6, -1, 0
	s_cmp_eq_u32 s5, s3
	s_cselect_b32 s5, s6, s8
	s_delay_alu instid0(SALU_CYCLE_1)
	s_cmp_lg_u32 s5, 0
	s_cselect_b32 s11, s14, s13
	s_cselect_b32 s10, s10, s12
	s_cbranch_execnz .LBB5_3
.LBB5_2:
	v_cvt_f32_u32_e32 v1, s2
	s_sub_co_i32 s6, 0, s2
	s_mov_b32 s11, 0
	s_delay_alu instid0(VALU_DEP_1) | instskip(SKIP_1) | instid1(TRANS32_DEP_1)
	v_rcp_iflag_f32_e32 v1, v1
	v_nop
	v_mul_f32_e32 v1, 0x4f7ffffe, v1
	s_delay_alu instid0(VALU_DEP_1) | instskip(NEXT) | instid1(VALU_DEP_1)
	v_cvt_u32_f32_e32 v1, v1
	v_readfirstlane_b32 s5, v1
	s_mul_i32 s6, s6, s5
	s_delay_alu instid0(SALU_CYCLE_1) | instskip(NEXT) | instid1(SALU_CYCLE_1)
	s_mul_hi_u32 s6, s5, s6
	s_add_co_i32 s5, s5, s6
	s_delay_alu instid0(SALU_CYCLE_1) | instskip(NEXT) | instid1(SALU_CYCLE_1)
	s_mul_hi_u32 s5, s4, s5
	s_mul_i32 s6, s5, s2
	s_delay_alu instid0(SALU_CYCLE_1)
	s_sub_co_i32 s4, s4, s6
	s_add_co_i32 s6, s5, 1
	s_sub_co_i32 s8, s4, s2
	s_cmp_ge_u32 s4, s2
	s_cselect_b32 s5, s6, s5
	s_cselect_b32 s4, s8, s4
	s_add_co_i32 s6, s5, 1
	s_cmp_ge_u32 s4, s2
	s_cselect_b32 s10, s6, s5
.LBB5_3:
	s_load_b32 s6, s[0:1], 0x44
	s_bfe_u32 s8, ttmp6, 0x4000c
	s_and_b32 s9, ttmp6, 15
	s_add_co_i32 s8, s8, 1
	s_lshr_b64 s[4:5], s[10:11], 3
	s_mul_i32 s8, ttmp9, s8
	s_getreg_b32 s10, hwreg(HW_REG_IB_STS2, 6, 4)
	s_add_co_i32 s9, s9, s8
	s_mul_u64 s[4:5], s[4:5], s[2:3]
	s_mov_b32 s13, 0
	s_wait_kmcnt 0x0
	s_and_b32 s12, s6, 0xffff
	s_cmp_eq_u32 s10, 0
	s_cselect_b32 s6, ttmp9, s9
	v_nop
	v_mad_u32 v0, s6, s12, v0
	s_mov_b32 s6, exec_lo
	s_delay_alu instid0(VALU_DEP_1) | instskip(NEXT) | instid1(VALU_DEP_1)
	v_ashrrev_i32_e32 v1, 31, v0
	v_cmpx_gt_u64_e64 s[4:5], v[0:1]
	s_cbranch_execz .LBB5_14
; %bb.4:
	s_load_b32 s16, s[0:1], 0x30
	s_add_nc_u64 s[14:15], s[0:1], 56
	s_load_b128 s[8:11], s[0:1], 0x20
	s_load_b32 s27, s[14:15], 0x0
	v_mov_b32_e32 v3, 0
	s_mov_b32 s19, s13
	s_wait_kmcnt 0x0
	s_bitcmp1_b32 s16, 0
	s_mul_i32 s27, s27, s12
	s_cselect_b32 s6, -1, 0
	s_delay_alu instid0(SALU_CYCLE_1)
	s_xor_b32 s6, s6, -1
	s_bitcmp1_b32 s16, 8
	s_clause 0x1
	s_load_b64 s[14:15], s[0:1], 0x0
	s_load_b64 s[16:17], s[0:1], 0x18
	s_wait_xcnt 0x0
	s_cselect_b32 s0, -1, 0
	s_abs_i32 s1, s2
	s_abs_i32 s26, s7
	s_cvt_f32_u32 s18, s1
	s_cvt_f32_u32 s20, s26
	s_lshl_b64 s[22:23], s[2:3], 2
	s_sub_co_i32 s3, 0, s1
	v_rcp_iflag_f32_e32 v1, s18
	v_rcp_iflag_f32_e32 v2, s20
	s_mul_i32 s20, s9, s8
	s_sub_co_i32 s33, 0, s26
	s_ashr_i32 s21, s20, 31
	s_add_co_i32 s28, s9, -1
	s_lshl_b64 s[24:25], s[20:21], 2
	v_readfirstlane_b32 s12, v1
	v_readfirstlane_b32 s18, v2
	s_add_co_i32 s8, s8, -1
	s_ashr_i32 s29, s2, 31
	s_ashr_i32 s30, s7, 31
	s_mul_f32 s12, s12, 0x4f7ffffe
	s_mul_f32 s18, s18, 0x4f7ffffe
	s_sub_co_i32 s31, 0, s2
	s_delay_alu instid0(SALU_CYCLE_1) | instskip(NEXT) | instid1(SALU_CYCLE_1)
	s_cvt_u32_f32 s12, s12
	s_cvt_u32_f32 s18, s18
	s_delay_alu instid0(SALU_CYCLE_2) | instskip(NEXT) | instid1(SALU_CYCLE_2)
	s_mul_i32 s3, s3, s12
	s_mul_i32 s33, s33, s18
	s_mul_hi_u32 s3, s12, s3
	s_mul_hi_u32 s21, s18, s33
	s_add_co_i32 s12, s12, s3
	s_add_co_i32 s18, s18, s21
	s_mov_b32 s3, s13
	s_branch .LBB5_6
.LBB5_5:                                ;   in Loop: Header=BB5_6 Depth=1
	v_dual_lshlrev_b32 v18, 3, v4 :: v_dual_min_i32 v4, s8, v6
	s_delay_alu instid0(VALU_DEP_2) | instskip(SKIP_2) | instid1(VALU_DEP_4)
	v_min_i32_e32 v6, s28, v7
	v_mul_lo_u32 v1, v1, s7
	v_add_nc_u32_e32 v0, s27, v0
	v_mul_lo_u32 v5, v18, s20
	v_mul_lo_u32 v4, v4, s9
	s_delay_alu instid0(VALU_DEP_1) | instskip(NEXT) | instid1(VALU_DEP_1)
	v_add3_u32 v4, v4, v5, v6
	v_ashrrev_i32_e32 v5, 31, v4
	s_wait_kmcnt 0x0
	s_delay_alu instid0(VALU_DEP_1) | instskip(NEXT) | instid1(VALU_DEP_1)
	v_lshl_add_u64 v[6:7], v[4:5], 2, s[16:17]
	v_add_nc_u64_e32 v[6:7], s[24:25], v[6:7]
	s_clause 0x1
	global_load_b32 v19, v4, s[16:17] scale_offset
	global_load_b32 v20, v[6:7], off
	v_add_nc_u64_e32 v[8:9], s[24:25], v[6:7]
	s_delay_alu instid0(VALU_DEP_1) | instskip(NEXT) | instid1(VALU_DEP_1)
	v_add_nc_u64_e32 v[10:11], s[24:25], v[8:9]
	v_add_nc_u64_e32 v[12:13], s[24:25], v[10:11]
	s_delay_alu instid0(VALU_DEP_1) | instskip(NEXT) | instid1(VALU_DEP_1)
	v_add_nc_u64_e32 v[14:15], s[24:25], v[12:13]
	v_add_nc_u64_e32 v[16:17], s[24:25], v[14:15]
	s_wait_xcnt 0x1
	s_delay_alu instid0(VALU_DEP_1)
	v_add_nc_u64_e32 v[4:5], s[24:25], v[16:17]
	s_clause 0x5
	global_load_b32 v21, v[8:9], off
	global_load_b32 v22, v[10:11], off
	;; [unrolled: 1-line block ×6, first 2 shown]
	s_wait_xcnt 0x0
	v_mul_lo_u32 v4, v18, s2
	s_delay_alu instid0(VALU_DEP_1) | instskip(SKIP_1) | instid1(VALU_DEP_2)
	v_add3_u32 v4, v1, v4, v2
	v_ashrrev_i32_e32 v1, 31, v0
	v_ashrrev_i32_e32 v5, 31, v4
	s_delay_alu instid0(VALU_DEP_2) | instskip(NEXT) | instid1(VALU_DEP_2)
	v_cmp_le_u64_e32 vcc_lo, s[4:5], v[0:1]
	v_lshl_add_u64 v[6:7], v[4:5], 2, s[14:15]
	s_or_b32 s3, vcc_lo, s3
	s_delay_alu instid0(VALU_DEP_1) | instskip(NEXT) | instid1(VALU_DEP_1)
	v_add_nc_u64_e32 v[6:7], s[22:23], v[6:7]
	v_add_nc_u64_e32 v[8:9], s[22:23], v[6:7]
	s_delay_alu instid0(VALU_DEP_1) | instskip(NEXT) | instid1(VALU_DEP_1)
	v_add_nc_u64_e32 v[10:11], s[22:23], v[8:9]
	v_add_nc_u64_e32 v[12:13], s[22:23], v[10:11]
	;; [unrolled: 3-line block ×3, first 2 shown]
	s_wait_loadcnt 0x7
	global_store_b32 v4, v19, s[14:15] scale_offset
	s_wait_xcnt 0x0
	v_add_nc_u64_e32 v[4:5], s[22:23], v[16:17]
	s_wait_loadcnt 0x6
	global_store_b32 v[6:7], v20, off
	s_wait_loadcnt 0x5
	global_store_b32 v[8:9], v21, off
	;; [unrolled: 2-line block ×7, first 2 shown]
	s_wait_xcnt 0x0
	s_and_not1_b32 exec_lo, exec_lo, s3
	s_cbranch_execz .LBB5_14
.LBB5_6:                                ; =>This Inner Loop Header: Depth=1
	v_sub_nc_u32_e32 v1, 0, v0
	s_mov_b32 s21, -1
	s_delay_alu instid0(VALU_DEP_1) | instskip(NEXT) | instid1(VALU_DEP_1)
	v_max_i32_e32 v2, v0, v1
	v_mul_u64_e32 v[4:5], s[12:13], v[2:3]
	s_delay_alu instid0(VALU_DEP_1) | instskip(SKIP_1) | instid1(VALU_DEP_2)
	v_mul_lo_u32 v1, v5, s1
	v_add_nc_u32_e32 v4, 1, v5
	v_sub_nc_u32_e32 v1, v2, v1
	s_delay_alu instid0(VALU_DEP_1) | instskip(NEXT) | instid1(VALU_DEP_3)
	v_cmp_le_u32_e32 vcc_lo, s1, v1
	v_cndmask_b32_e32 v4, v5, v4, vcc_lo
	v_ashrrev_i32_e32 v5, 31, v0
	v_subrev_nc_u32_e32 v6, s1, v1
	s_delay_alu instid0(VALU_DEP_1) | instskip(NEXT) | instid1(VALU_DEP_1)
	v_dual_cndmask_b32 v1, v1, v6 :: v_dual_add_nc_u32 v6, 1, v4
	v_cmp_le_u32_e32 vcc_lo, s1, v1
	s_delay_alu instid0(VALU_DEP_2) | instskip(NEXT) | instid1(VALU_DEP_1)
	v_dual_cndmask_b32 v1, v4, v6, vcc_lo :: v_dual_bitop2_b32 v7, s29, v5 bitop3:0x14
	v_xor_b32_e32 v1, v1, v7
	s_delay_alu instid0(VALU_DEP_1) | instskip(NEXT) | instid1(VALU_DEP_1)
	v_dual_mov_b32 v7, v3 :: v_dual_sub_nc_u32 v4, v1, v7
	v_mad_u32 v1, s31, v4, v0
	s_delay_alu instid0(VALU_DEP_1) | instskip(SKIP_1) | instid1(VALU_DEP_1)
	v_ashrrev_i32_e32 v1, 31, v1
	v_mul_lo_u32 v6, v4, s2
	v_sub_nc_u32_e32 v6, v1, v6
	s_delay_alu instid0(VALU_DEP_1) | instskip(NEXT) | instid1(VALU_DEP_1)
	v_add_nc_u32_e32 v6, v0, v6
	v_xor_b32_e32 v6, v6, v1
	s_delay_alu instid0(VALU_DEP_1) | instskip(NEXT) | instid1(VALU_DEP_1)
	v_mul_u64_e32 v[8:9], s[18:19], v[6:7]
	v_mul_lo_u32 v7, v9, s26
	s_delay_alu instid0(VALU_DEP_1) | instskip(NEXT) | instid1(VALU_DEP_1)
	v_dual_sub_nc_u32 v6, v6, v7 :: v_dual_add_nc_u32 v7, 1, v9
	v_subrev_nc_u32_e32 v8, s26, v6
	v_cmp_le_u32_e32 vcc_lo, s26, v6
	s_delay_alu instid0(VALU_DEP_2) | instskip(NEXT) | instid1(VALU_DEP_1)
	v_dual_cndmask_b32 v7, v9, v7 :: v_dual_cndmask_b32 v6, v6, v8
	v_add_nc_u32_e32 v8, 1, v7
	s_delay_alu instid0(VALU_DEP_2) | instskip(NEXT) | instid1(VALU_DEP_2)
	v_cmp_le_u32_e32 vcc_lo, s26, v6
	v_dual_cndmask_b32 v6, v7, v8, vcc_lo :: v_dual_bitop2_b32 v1, s30, v1 bitop3:0x14
	s_and_b32 vcc_lo, exec_lo, s6
	s_delay_alu instid0(VALU_DEP_1) | instskip(NEXT) | instid1(VALU_DEP_1)
	v_xor_b32_e32 v6, v6, v1
	v_sub_nc_u32_e32 v1, v6, v1
	s_delay_alu instid0(VALU_DEP_1) | instskip(NEXT) | instid1(VALU_DEP_1)
	v_cvt_f32_i32_e32 v6, v1
	v_add_f32_e32 v7, 0.5, v6
	s_delay_alu instid0(VALU_DEP_1) | instskip(NEXT) | instid1(VALU_DEP_1)
	v_cndmask_b32_e64 v6, v6, v7, s0
	v_mul_f32_e32 v7, s10, v6
                                        ; implicit-def: $vgpr6
	s_cbranch_vccz .LBB5_8
; %bb.7:                                ;   in Loop: Header=BB5_6 Depth=1
	s_delay_alu instid0(VALU_DEP_1)
	v_cvt_i32_f32_e32 v6, v7
	s_mov_b32 s21, 0
.LBB5_8:                                ;   in Loop: Header=BB5_6 Depth=1
	s_delay_alu instid0(SALU_CYCLE_1)
	s_and_not1_b32 vcc_lo, exec_lo, s21
	s_cbranch_vccnz .LBB5_10
; %bb.9:                                ;   in Loop: Header=BB5_6 Depth=1
	s_delay_alu instid0(VALU_DEP_1) | instskip(NEXT) | instid1(VALU_DEP_1)
	v_trunc_f32_e32 v6, v7
	v_sub_f32_e32 v8, v7, v6
	s_delay_alu instid0(VALU_DEP_1) | instskip(NEXT) | instid1(VALU_DEP_1)
	v_cmp_ge_f32_e64 s21, |v8|, 0.5
	v_cndmask_b32_e64 v8, 0, 1.0, s21
	s_delay_alu instid0(VALU_DEP_1) | instskip(NEXT) | instid1(VALU_DEP_1)
	v_bfi_b32 v7, 0x7fffffff, v8, v7
	v_add_f32_e32 v6, v6, v7
	s_delay_alu instid0(VALU_DEP_1) | instskip(NEXT) | instid1(VALU_DEP_1)
	v_trunc_f32_e32 v6, v6
	v_mul_f32_e64 v7, 0x2f800000, |v6|
	s_delay_alu instid0(VALU_DEP_1) | instskip(NEXT) | instid1(VALU_DEP_1)
	v_floor_f32_e32 v7, v7
	v_fma_f32 v7, 0xcf800000, v7, |v6|
	v_ashrrev_i32_e32 v6, 31, v6
	s_delay_alu instid0(VALU_DEP_2) | instskip(NEXT) | instid1(VALU_DEP_1)
	v_cvt_u32_f32_e32 v7, v7
	v_xor_b32_e32 v7, v7, v6
	s_delay_alu instid0(VALU_DEP_1)
	v_sub_nc_u32_e32 v6, v7, v6
.LBB5_10:                               ;   in Loop: Header=BB5_6 Depth=1
	v_mul_u64_e32 v[8:9], s[18:19], v[2:3]
	s_mov_b32 s21, -1
	s_delay_alu instid0(VALU_DEP_1) | instskip(NEXT) | instid1(VALU_DEP_1)
	v_mul_lo_u32 v7, v9, s26
	v_sub_nc_u32_e32 v2, v2, v7
	s_delay_alu instid0(VALU_DEP_1) | instskip(SKIP_1) | instid1(VALU_DEP_2)
	v_subrev_nc_u32_e32 v7, s26, v2
	v_cmp_le_u32_e32 vcc_lo, s26, v2
	v_cndmask_b32_e32 v2, v2, v7, vcc_lo
	s_delay_alu instid0(VALU_DEP_1) | instskip(SKIP_1) | instid1(VALU_DEP_2)
	v_subrev_nc_u32_e32 v7, s26, v2
	v_cmp_le_u32_e32 vcc_lo, s26, v2
	v_cndmask_b32_e32 v2, v2, v7, vcc_lo
	s_and_b32 vcc_lo, exec_lo, s6
	s_delay_alu instid0(VALU_DEP_1) | instskip(NEXT) | instid1(VALU_DEP_1)
	v_xor_b32_e32 v2, v2, v5
	v_sub_nc_u32_e32 v2, v2, v5
	s_delay_alu instid0(VALU_DEP_1) | instskip(NEXT) | instid1(VALU_DEP_1)
	v_cvt_f32_i32_e32 v5, v2
	v_add_f32_e32 v7, 0.5, v5
	s_delay_alu instid0(VALU_DEP_1) | instskip(NEXT) | instid1(VALU_DEP_1)
	v_cndmask_b32_e64 v5, v5, v7, s0
                                        ; implicit-def: $vgpr7
	v_mul_f32_e32 v5, s11, v5
	s_cbranch_vccz .LBB5_12
; %bb.11:                               ;   in Loop: Header=BB5_6 Depth=1
	s_delay_alu instid0(VALU_DEP_1)
	v_cvt_i32_f32_e32 v7, v5
	s_mov_b32 s21, 0
.LBB5_12:                               ;   in Loop: Header=BB5_6 Depth=1
	s_delay_alu instid0(SALU_CYCLE_1)
	s_and_not1_b32 vcc_lo, exec_lo, s21
	s_cbranch_vccnz .LBB5_5
; %bb.13:                               ;   in Loop: Header=BB5_6 Depth=1
	s_delay_alu instid0(VALU_DEP_1) | instskip(NEXT) | instid1(VALU_DEP_1)
	v_trunc_f32_e32 v7, v5
	v_sub_f32_e32 v8, v5, v7
	s_delay_alu instid0(VALU_DEP_1) | instskip(NEXT) | instid1(VALU_DEP_1)
	v_cmp_ge_f32_e64 s21, |v8|, 0.5
	v_cndmask_b32_e64 v8, 0, 1.0, s21
	s_delay_alu instid0(VALU_DEP_1) | instskip(NEXT) | instid1(VALU_DEP_1)
	v_bfi_b32 v5, 0x7fffffff, v8, v5
	v_add_f32_e32 v5, v7, v5
	s_delay_alu instid0(VALU_DEP_1) | instskip(NEXT) | instid1(VALU_DEP_1)
	v_trunc_f32_e32 v5, v5
	v_mul_f32_e64 v7, 0x2f800000, |v5|
	s_delay_alu instid0(VALU_DEP_1) | instskip(NEXT) | instid1(VALU_DEP_1)
	v_floor_f32_e32 v7, v7
	v_fma_f32 v7, 0xcf800000, v7, |v5|
	v_ashrrev_i32_e32 v5, 31, v5
	s_delay_alu instid0(VALU_DEP_2) | instskip(NEXT) | instid1(VALU_DEP_1)
	v_cvt_u32_f32_e32 v7, v7
	v_xor_b32_e32 v7, v7, v5
	s_delay_alu instid0(VALU_DEP_1)
	v_sub_nc_u32_e32 v7, v7, v5
	s_branch .LBB5_5
.LBB5_14:
	s_endpgm
.LBB5_15:
                                        ; implicit-def: $sgpr10_sgpr11
	s_branch .LBB5_2
	.section	.rodata,"a",@progbits
	.p2align	6, 0x0
	.amdhsa_kernel _Z6resizeIjLm8EEvPT_miiPKS0_iiffbb
		.amdhsa_group_segment_fixed_size 0
		.amdhsa_private_segment_fixed_size 0
		.amdhsa_kernarg_size 312
		.amdhsa_user_sgpr_count 2
		.amdhsa_user_sgpr_dispatch_ptr 0
		.amdhsa_user_sgpr_queue_ptr 0
		.amdhsa_user_sgpr_kernarg_segment_ptr 1
		.amdhsa_user_sgpr_dispatch_id 0
		.amdhsa_user_sgpr_kernarg_preload_length 0
		.amdhsa_user_sgpr_kernarg_preload_offset 0
		.amdhsa_user_sgpr_private_segment_size 0
		.amdhsa_wavefront_size32 1
		.amdhsa_uses_dynamic_stack 0
		.amdhsa_enable_private_segment 0
		.amdhsa_system_sgpr_workgroup_id_x 1
		.amdhsa_system_sgpr_workgroup_id_y 0
		.amdhsa_system_sgpr_workgroup_id_z 0
		.amdhsa_system_sgpr_workgroup_info 0
		.amdhsa_system_vgpr_workitem_id 0
		.amdhsa_next_free_vgpr 27
		.amdhsa_next_free_sgpr 34
		.amdhsa_named_barrier_count 0
		.amdhsa_reserve_vcc 1
		.amdhsa_float_round_mode_32 0
		.amdhsa_float_round_mode_16_64 0
		.amdhsa_float_denorm_mode_32 3
		.amdhsa_float_denorm_mode_16_64 3
		.amdhsa_fp16_overflow 0
		.amdhsa_memory_ordered 1
		.amdhsa_forward_progress 1
		.amdhsa_inst_pref_size 17
		.amdhsa_round_robin_scheduling 0
		.amdhsa_exception_fp_ieee_invalid_op 0
		.amdhsa_exception_fp_denorm_src 0
		.amdhsa_exception_fp_ieee_div_zero 0
		.amdhsa_exception_fp_ieee_overflow 0
		.amdhsa_exception_fp_ieee_underflow 0
		.amdhsa_exception_fp_ieee_inexact 0
		.amdhsa_exception_int_div_zero 0
	.end_amdhsa_kernel
	.section	.text._Z6resizeIjLm8EEvPT_miiPKS0_iiffbb,"axG",@progbits,_Z6resizeIjLm8EEvPT_miiPKS0_iiffbb,comdat
.Lfunc_end5:
	.size	_Z6resizeIjLm8EEvPT_miiPKS0_iiffbb, .Lfunc_end5-_Z6resizeIjLm8EEvPT_miiPKS0_iiffbb
                                        ; -- End function
	.set _Z6resizeIjLm8EEvPT_miiPKS0_iiffbb.num_vgpr, 27
	.set _Z6resizeIjLm8EEvPT_miiPKS0_iiffbb.num_agpr, 0
	.set _Z6resizeIjLm8EEvPT_miiPKS0_iiffbb.numbered_sgpr, 34
	.set _Z6resizeIjLm8EEvPT_miiPKS0_iiffbb.num_named_barrier, 0
	.set _Z6resizeIjLm8EEvPT_miiPKS0_iiffbb.private_seg_size, 0
	.set _Z6resizeIjLm8EEvPT_miiPKS0_iiffbb.uses_vcc, 1
	.set _Z6resizeIjLm8EEvPT_miiPKS0_iiffbb.uses_flat_scratch, 0
	.set _Z6resizeIjLm8EEvPT_miiPKS0_iiffbb.has_dyn_sized_stack, 0
	.set _Z6resizeIjLm8EEvPT_miiPKS0_iiffbb.has_recursion, 0
	.set _Z6resizeIjLm8EEvPT_miiPKS0_iiffbb.has_indirect_call, 0
	.section	.AMDGPU.csdata,"",@progbits
; Kernel info:
; codeLenInByte = 2092
; TotalNumSgprs: 36
; NumVgprs: 27
; ScratchSize: 0
; MemoryBound: 0
; FloatMode: 240
; IeeeMode: 1
; LDSByteSize: 0 bytes/workgroup (compile time only)
; SGPRBlocks: 0
; VGPRBlocks: 1
; NumSGPRsForWavesPerEU: 36
; NumVGPRsForWavesPerEU: 27
; NamedBarCnt: 0
; Occupancy: 16
; WaveLimiterHint : 0
; COMPUTE_PGM_RSRC2:SCRATCH_EN: 0
; COMPUTE_PGM_RSRC2:USER_SGPR: 2
; COMPUTE_PGM_RSRC2:TRAP_HANDLER: 0
; COMPUTE_PGM_RSRC2:TGID_X_EN: 1
; COMPUTE_PGM_RSRC2:TGID_Y_EN: 0
; COMPUTE_PGM_RSRC2:TGID_Z_EN: 0
; COMPUTE_PGM_RSRC2:TIDIG_COMP_CNT: 0
	.section	.AMDGPU.gpr_maximums,"",@progbits
	.set amdgpu.max_num_vgpr, 0
	.set amdgpu.max_num_agpr, 0
	.set amdgpu.max_num_sgpr, 0
	.section	.AMDGPU.csdata,"",@progbits
	.type	__hip_cuid_afa78617f34e8621,@object ; @__hip_cuid_afa78617f34e8621
	.section	.bss,"aw",@nobits
	.globl	__hip_cuid_afa78617f34e8621
__hip_cuid_afa78617f34e8621:
	.byte	0                               ; 0x0
	.size	__hip_cuid_afa78617f34e8621, 1

	.ident	"AMD clang version 22.0.0git (https://github.com/RadeonOpenCompute/llvm-project roc-7.2.4 26084 f58b06dce1f9c15707c5f808fd002e18c2accf7e)"
	.section	".note.GNU-stack","",@progbits
	.addrsig
	.addrsig_sym __hip_cuid_afa78617f34e8621
	.amdgpu_metadata
---
amdhsa.kernels:
  - .args:
      - .actual_access:  write_only
        .address_space:  global
        .offset:         0
        .size:           8
        .value_kind:     global_buffer
      - .offset:         8
        .size:           8
        .value_kind:     by_value
      - .offset:         16
        .size:           4
        .value_kind:     by_value
      - .offset:         20
        .size:           4
        .value_kind:     by_value
      - .actual_access:  read_only
        .address_space:  global
        .offset:         24
        .size:           8
        .value_kind:     global_buffer
      - .offset:         32
        .size:           4
        .value_kind:     by_value
      - .offset:         36
        .size:           4
        .value_kind:     by_value
      - .offset:         40
        .size:           4
        .value_kind:     by_value
      - .offset:         44
        .size:           4
        .value_kind:     by_value
      - .offset:         48
        .size:           1
        .value_kind:     by_value
      - .offset:         56
        .size:           4
        .value_kind:     hidden_block_count_x
      - .offset:         60
        .size:           4
        .value_kind:     hidden_block_count_y
      - .offset:         64
        .size:           4
        .value_kind:     hidden_block_count_z
      - .offset:         68
        .size:           2
        .value_kind:     hidden_group_size_x
      - .offset:         70
        .size:           2
        .value_kind:     hidden_group_size_y
      - .offset:         72
        .size:           2
        .value_kind:     hidden_group_size_z
      - .offset:         74
        .size:           2
        .value_kind:     hidden_remainder_x
      - .offset:         76
        .size:           2
        .value_kind:     hidden_remainder_y
      - .offset:         78
        .size:           2
        .value_kind:     hidden_remainder_z
      - .offset:         96
        .size:           8
        .value_kind:     hidden_global_offset_x
      - .offset:         104
        .size:           8
        .value_kind:     hidden_global_offset_y
      - .offset:         112
        .size:           8
        .value_kind:     hidden_global_offset_z
      - .offset:         120
        .size:           2
        .value_kind:     hidden_grid_dims
    .group_segment_fixed_size: 0
    .kernarg_segment_align: 8
    .kernarg_segment_size: 312
    .language:       OpenCL C
    .language_version:
      - 2
      - 0
    .max_flat_workgroup_size: 1024
    .name:           _Z15resize_bilinearIhLm8EEvPT_miiPKS0_iiffb
    .private_segment_fixed_size: 0
    .sgpr_count:     36
    .sgpr_spill_count: 0
    .symbol:         _Z15resize_bilinearIhLm8EEvPT_miiPKS0_iiffb.kd
    .uniform_work_group_size: 1
    .uses_dynamic_stack: false
    .vgpr_count:     25
    .vgpr_spill_count: 0
    .wavefront_size: 32
  - .args:
      - .actual_access:  write_only
        .address_space:  global
        .offset:         0
        .size:           8
        .value_kind:     global_buffer
      - .offset:         8
        .size:           8
        .value_kind:     by_value
      - .offset:         16
        .size:           4
        .value_kind:     by_value
      - .offset:         20
        .size:           4
        .value_kind:     by_value
      - .actual_access:  read_only
        .address_space:  global
        .offset:         24
        .size:           8
        .value_kind:     global_buffer
      - .offset:         32
        .size:           4
        .value_kind:     by_value
      - .offset:         36
        .size:           4
        .value_kind:     by_value
      - .offset:         40
        .size:           4
        .value_kind:     by_value
      - .offset:         44
        .size:           4
        .value_kind:     by_value
      - .offset:         48
        .size:           1
        .value_kind:     by_value
      - .offset:         49
        .size:           1
        .value_kind:     by_value
      - .offset:         56
        .size:           4
        .value_kind:     hidden_block_count_x
      - .offset:         60
        .size:           4
        .value_kind:     hidden_block_count_y
      - .offset:         64
        .size:           4
        .value_kind:     hidden_block_count_z
      - .offset:         68
        .size:           2
        .value_kind:     hidden_group_size_x
      - .offset:         70
        .size:           2
        .value_kind:     hidden_group_size_y
      - .offset:         72
        .size:           2
        .value_kind:     hidden_group_size_z
      - .offset:         74
        .size:           2
        .value_kind:     hidden_remainder_x
      - .offset:         76
        .size:           2
        .value_kind:     hidden_remainder_y
      - .offset:         78
        .size:           2
        .value_kind:     hidden_remainder_z
      - .offset:         96
        .size:           8
        .value_kind:     hidden_global_offset_x
      - .offset:         104
        .size:           8
        .value_kind:     hidden_global_offset_y
      - .offset:         112
        .size:           8
        .value_kind:     hidden_global_offset_z
      - .offset:         120
        .size:           2
        .value_kind:     hidden_grid_dims
    .group_segment_fixed_size: 0
    .kernarg_segment_align: 8
    .kernarg_segment_size: 312
    .language:       OpenCL C
    .language_version:
      - 2
      - 0
    .max_flat_workgroup_size: 1024
    .name:           _Z6resizeIhLm8EEvPT_miiPKS0_iiffbb
    .private_segment_fixed_size: 0
    .sgpr_count:     32
    .sgpr_spill_count: 0
    .symbol:         _Z6resizeIhLm8EEvPT_miiPKS0_iiffbb.kd
    .uniform_work_group_size: 1
    .uses_dynamic_stack: false
    .vgpr_count:     27
    .vgpr_spill_count: 0
    .wavefront_size: 32
  - .args:
      - .actual_access:  write_only
        .address_space:  global
        .offset:         0
        .size:           8
        .value_kind:     global_buffer
      - .offset:         8
        .size:           8
        .value_kind:     by_value
      - .offset:         16
        .size:           4
        .value_kind:     by_value
      - .offset:         20
        .size:           4
        .value_kind:     by_value
      - .actual_access:  read_only
        .address_space:  global
        .offset:         24
        .size:           8
        .value_kind:     global_buffer
      - .offset:         32
        .size:           4
        .value_kind:     by_value
      - .offset:         36
        .size:           4
        .value_kind:     by_value
      - .offset:         40
        .size:           4
        .value_kind:     by_value
      - .offset:         44
        .size:           4
        .value_kind:     by_value
      - .offset:         48
        .size:           1
        .value_kind:     by_value
      - .offset:         56
        .size:           4
        .value_kind:     hidden_block_count_x
      - .offset:         60
        .size:           4
        .value_kind:     hidden_block_count_y
      - .offset:         64
        .size:           4
        .value_kind:     hidden_block_count_z
      - .offset:         68
        .size:           2
        .value_kind:     hidden_group_size_x
      - .offset:         70
        .size:           2
        .value_kind:     hidden_group_size_y
      - .offset:         72
        .size:           2
        .value_kind:     hidden_group_size_z
      - .offset:         74
        .size:           2
        .value_kind:     hidden_remainder_x
      - .offset:         76
        .size:           2
        .value_kind:     hidden_remainder_y
      - .offset:         78
        .size:           2
        .value_kind:     hidden_remainder_z
      - .offset:         96
        .size:           8
        .value_kind:     hidden_global_offset_x
      - .offset:         104
        .size:           8
        .value_kind:     hidden_global_offset_y
      - .offset:         112
        .size:           8
        .value_kind:     hidden_global_offset_z
      - .offset:         120
        .size:           2
        .value_kind:     hidden_grid_dims
    .group_segment_fixed_size: 0
    .kernarg_segment_align: 8
    .kernarg_segment_size: 312
    .language:       OpenCL C
    .language_version:
      - 2
      - 0
    .max_flat_workgroup_size: 1024
    .name:           _Z15resize_bilinearItLm8EEvPT_miiPKS0_iiffb
    .private_segment_fixed_size: 0
    .sgpr_count:     38
    .sgpr_spill_count: 0
    .symbol:         _Z15resize_bilinearItLm8EEvPT_miiPKS0_iiffb.kd
    .uniform_work_group_size: 1
    .uses_dynamic_stack: false
    .vgpr_count:     25
    .vgpr_spill_count: 0
    .wavefront_size: 32
  - .args:
      - .actual_access:  write_only
        .address_space:  global
        .offset:         0
        .size:           8
        .value_kind:     global_buffer
      - .offset:         8
        .size:           8
        .value_kind:     by_value
      - .offset:         16
        .size:           4
        .value_kind:     by_value
      - .offset:         20
        .size:           4
        .value_kind:     by_value
      - .actual_access:  read_only
        .address_space:  global
        .offset:         24
        .size:           8
        .value_kind:     global_buffer
      - .offset:         32
        .size:           4
        .value_kind:     by_value
      - .offset:         36
        .size:           4
        .value_kind:     by_value
      - .offset:         40
        .size:           4
        .value_kind:     by_value
      - .offset:         44
        .size:           4
        .value_kind:     by_value
      - .offset:         48
        .size:           1
        .value_kind:     by_value
      - .offset:         49
        .size:           1
        .value_kind:     by_value
      - .offset:         56
        .size:           4
        .value_kind:     hidden_block_count_x
      - .offset:         60
        .size:           4
        .value_kind:     hidden_block_count_y
      - .offset:         64
        .size:           4
        .value_kind:     hidden_block_count_z
      - .offset:         68
        .size:           2
        .value_kind:     hidden_group_size_x
      - .offset:         70
        .size:           2
        .value_kind:     hidden_group_size_y
      - .offset:         72
        .size:           2
        .value_kind:     hidden_group_size_z
      - .offset:         74
        .size:           2
        .value_kind:     hidden_remainder_x
      - .offset:         76
        .size:           2
        .value_kind:     hidden_remainder_y
      - .offset:         78
        .size:           2
        .value_kind:     hidden_remainder_z
      - .offset:         96
        .size:           8
        .value_kind:     hidden_global_offset_x
      - .offset:         104
        .size:           8
        .value_kind:     hidden_global_offset_y
      - .offset:         112
        .size:           8
        .value_kind:     hidden_global_offset_z
      - .offset:         120
        .size:           2
        .value_kind:     hidden_grid_dims
    .group_segment_fixed_size: 0
    .kernarg_segment_align: 8
    .kernarg_segment_size: 312
    .language:       OpenCL C
    .language_version:
      - 2
      - 0
    .max_flat_workgroup_size: 1024
    .name:           _Z6resizeItLm8EEvPT_miiPKS0_iiffbb
    .private_segment_fixed_size: 0
    .sgpr_count:     36
    .sgpr_spill_count: 0
    .symbol:         _Z6resizeItLm8EEvPT_miiPKS0_iiffbb.kd
    .uniform_work_group_size: 1
    .uses_dynamic_stack: false
    .vgpr_count:     27
    .vgpr_spill_count: 0
    .wavefront_size: 32
  - .args:
      - .actual_access:  write_only
        .address_space:  global
        .offset:         0
        .size:           8
        .value_kind:     global_buffer
      - .offset:         8
        .size:           8
        .value_kind:     by_value
      - .offset:         16
        .size:           4
        .value_kind:     by_value
      - .offset:         20
        .size:           4
        .value_kind:     by_value
      - .actual_access:  read_only
        .address_space:  global
        .offset:         24
        .size:           8
        .value_kind:     global_buffer
      - .offset:         32
        .size:           4
        .value_kind:     by_value
      - .offset:         36
        .size:           4
        .value_kind:     by_value
      - .offset:         40
        .size:           4
        .value_kind:     by_value
      - .offset:         44
        .size:           4
        .value_kind:     by_value
      - .offset:         48
        .size:           1
        .value_kind:     by_value
      - .offset:         56
        .size:           4
        .value_kind:     hidden_block_count_x
      - .offset:         60
        .size:           4
        .value_kind:     hidden_block_count_y
      - .offset:         64
        .size:           4
        .value_kind:     hidden_block_count_z
      - .offset:         68
        .size:           2
        .value_kind:     hidden_group_size_x
      - .offset:         70
        .size:           2
        .value_kind:     hidden_group_size_y
      - .offset:         72
        .size:           2
        .value_kind:     hidden_group_size_z
      - .offset:         74
        .size:           2
        .value_kind:     hidden_remainder_x
      - .offset:         76
        .size:           2
        .value_kind:     hidden_remainder_y
      - .offset:         78
        .size:           2
        .value_kind:     hidden_remainder_z
      - .offset:         96
        .size:           8
        .value_kind:     hidden_global_offset_x
      - .offset:         104
        .size:           8
        .value_kind:     hidden_global_offset_y
      - .offset:         112
        .size:           8
        .value_kind:     hidden_global_offset_z
      - .offset:         120
        .size:           2
        .value_kind:     hidden_grid_dims
    .group_segment_fixed_size: 0
    .kernarg_segment_align: 8
    .kernarg_segment_size: 312
    .language:       OpenCL C
    .language_version:
      - 2
      - 0
    .max_flat_workgroup_size: 1024
    .name:           _Z15resize_bilinearIjLm8EEvPT_miiPKS0_iiffb
    .private_segment_fixed_size: 0
    .sgpr_count:     38
    .sgpr_spill_count: 0
    .symbol:         _Z15resize_bilinearIjLm8EEvPT_miiPKS0_iiffb.kd
    .uniform_work_group_size: 1
    .uses_dynamic_stack: false
    .vgpr_count:     25
    .vgpr_spill_count: 0
    .wavefront_size: 32
  - .args:
      - .actual_access:  write_only
        .address_space:  global
        .offset:         0
        .size:           8
        .value_kind:     global_buffer
      - .offset:         8
        .size:           8
        .value_kind:     by_value
      - .offset:         16
        .size:           4
        .value_kind:     by_value
      - .offset:         20
        .size:           4
        .value_kind:     by_value
      - .actual_access:  read_only
        .address_space:  global
        .offset:         24
        .size:           8
        .value_kind:     global_buffer
      - .offset:         32
        .size:           4
        .value_kind:     by_value
      - .offset:         36
        .size:           4
        .value_kind:     by_value
      - .offset:         40
        .size:           4
        .value_kind:     by_value
      - .offset:         44
        .size:           4
        .value_kind:     by_value
      - .offset:         48
        .size:           1
        .value_kind:     by_value
      - .offset:         49
        .size:           1
        .value_kind:     by_value
      - .offset:         56
        .size:           4
        .value_kind:     hidden_block_count_x
      - .offset:         60
        .size:           4
        .value_kind:     hidden_block_count_y
      - .offset:         64
        .size:           4
        .value_kind:     hidden_block_count_z
      - .offset:         68
        .size:           2
        .value_kind:     hidden_group_size_x
      - .offset:         70
        .size:           2
        .value_kind:     hidden_group_size_y
      - .offset:         72
        .size:           2
        .value_kind:     hidden_group_size_z
      - .offset:         74
        .size:           2
        .value_kind:     hidden_remainder_x
      - .offset:         76
        .size:           2
        .value_kind:     hidden_remainder_y
      - .offset:         78
        .size:           2
        .value_kind:     hidden_remainder_z
      - .offset:         96
        .size:           8
        .value_kind:     hidden_global_offset_x
      - .offset:         104
        .size:           8
        .value_kind:     hidden_global_offset_y
      - .offset:         112
        .size:           8
        .value_kind:     hidden_global_offset_z
      - .offset:         120
        .size:           2
        .value_kind:     hidden_grid_dims
    .group_segment_fixed_size: 0
    .kernarg_segment_align: 8
    .kernarg_segment_size: 312
    .language:       OpenCL C
    .language_version:
      - 2
      - 0
    .max_flat_workgroup_size: 1024
    .name:           _Z6resizeIjLm8EEvPT_miiPKS0_iiffbb
    .private_segment_fixed_size: 0
    .sgpr_count:     36
    .sgpr_spill_count: 0
    .symbol:         _Z6resizeIjLm8EEvPT_miiPKS0_iiffbb.kd
    .uniform_work_group_size: 1
    .uses_dynamic_stack: false
    .vgpr_count:     27
    .vgpr_spill_count: 0
    .wavefront_size: 32
amdhsa.target:   amdgcn-amd-amdhsa--gfx1250
amdhsa.version:
  - 1
  - 2
...

	.end_amdgpu_metadata
